;; amdgpu-corpus repo=ROCm/Tensile kind=harvested arch=n/a opt=n/a

/******************************************/
/* Function Prefix                        */
/******************************************/



/******************************************/
/* Begin Kernel                           */
/******************************************/

// Component.Signature.SignatureDefault
.amdgcn_target "amdgcn-amd-amdhsa--gfx908"
.text
.protected Cijk_Ailk_Bjlk_HHS_BH_MT64x144x32_MI16x16x16x1_SN_1LDSB0_APM1_AF0EM1_AF1EM1_AMAS0_ASE_ASAE01_ASCE01_ASEM1_BL1_DTLA0_DTLB0_DVO0_EPS1_FL0_GLVWA2_GLVWB2_GRVW2_GSU1_GSUASB_ISA908_IU1_K1_KLA_LBSPPA0_LBSPPB0_LPA0_LPB0_LDL1_LRVW4_LDW0_FMA_MDA2_MMFGLC_NTC0_NTD0_NEPBS0_NLCA1_NLCB9_ONLL1_OPLV0_PK0_PAP0_PGR1_PLR2_SIA3_SS0_SU32_SUM0_SUS256_SPO0_SRVW4_SSO0_SVW4_SNLL0_TT1_144_TLDS0_UMLDSA0_UMLDSB0_USFGROn1_VAW2_VSn1_VW1_VWB1_WSGRA1_WSGRB1_WG64_4_1_WGM8
.globl Cijk_Ailk_Bjlk_HHS_BH_MT64x144x32_MI16x16x16x1_SN_1LDSB0_APM1_AF0EM1_AF1EM1_AMAS0_ASE_ASAE01_ASCE01_ASEM1_BL1_DTLA0_DTLB0_DVO0_EPS1_FL0_GLVWA2_GLVWB2_GRVW2_GSU1_GSUASB_ISA908_IU1_K1_KLA_LBSPPA0_LBSPPB0_LPA0_LPB0_LDL1_LRVW4_LDW0_FMA_MDA2_MMFGLC_NTC0_NTD0_NEPBS0_NLCA1_NLCB9_ONLL1_OPLV0_PK0_PAP0_PGR1_PLR2_SIA3_SS0_SU32_SUM0_SUS256_SPO0_SRVW4_SSO0_SVW4_SNLL0_TT1_144_TLDS0_UMLDSA0_UMLDSB0_USFGROn1_VAW2_VSn1_VW1_VWB1_WSGRA1_WSGRB1_WG64_4_1_WGM8
.p2align 8
.type Cijk_Ailk_Bjlk_HHS_BH_MT64x144x32_MI16x16x16x1_SN_1LDSB0_APM1_AF0EM1_AF1EM1_AMAS0_ASE_ASAE01_ASCE01_ASEM1_BL1_DTLA0_DTLB0_DVO0_EPS1_FL0_GLVWA2_GLVWB2_GRVW2_GSU1_GSUASB_ISA908_IU1_K1_KLA_LBSPPA0_LBSPPB0_LPA0_LPB0_LDL1_LRVW4_LDW0_FMA_MDA2_MMFGLC_NTC0_NTD0_NEPBS0_NLCA1_NLCB9_ONLL1_OPLV0_PK0_PAP0_PGR1_PLR2_SIA3_SS0_SU32_SUM0_SUS256_SPO0_SRVW4_SSO0_SVW4_SNLL0_TT1_144_TLDS0_UMLDSA0_UMLDSB0_USFGROn1_VAW2_VSn1_VW1_VWB1_WSGRA1_WSGRB1_WG64_4_1_WGM8,@function
.section .rodata,#alloc
.p2align 6
.amdhsa_kernel Cijk_Ailk_Bjlk_HHS_BH_MT64x144x32_MI16x16x16x1_SN_1LDSB0_APM1_AF0EM1_AF1EM1_AMAS0_ASE_ASAE01_ASCE01_ASEM1_BL1_DTLA0_DTLB0_DVO0_EPS1_FL0_GLVWA2_GLVWB2_GRVW2_GSU1_GSUASB_ISA908_IU1_K1_KLA_LBSPPA0_LBSPPB0_LPA0_LPB0_LDL1_LRVW4_LDW0_FMA_MDA2_MMFGLC_NTC0_NTD0_NEPBS0_NLCA1_NLCB9_ONLL1_OPLV0_PK0_PAP0_PGR1_PLR2_SIA3_SS0_SU32_SUM0_SUS256_SPO0_SRVW4_SSO0_SVW4_SNLL0_TT1_144_TLDS0_UMLDSA0_UMLDSB0_USFGROn1_VAW2_VSn1_VW1_VWB1_WSGRA1_WSGRB1_WG64_4_1_WGM8
  .amdhsa_user_sgpr_kernarg_segment_ptr 1
  .amdhsa_user_sgpr_count 2
  .amdhsa_next_free_vgpr 128 // vgprs
  .amdhsa_next_free_sgpr 63 // sgprs
  .amdhsa_group_segment_fixed_size 29696 // lds bytes
  .amdhsa_private_segment_fixed_size 0
  .amdhsa_system_sgpr_workgroup_id_x 1
  .amdhsa_system_sgpr_workgroup_id_y 1
  .amdhsa_system_sgpr_workgroup_id_z 1
  .amdhsa_system_vgpr_workitem_id 0
  .amdhsa_float_denorm_mode_32 3
  .amdhsa_float_denorm_mode_16_64 3
.end_amdhsa_kernel
.text

/******************************************/
/* Optimizations and Config:              */
/******************************************/
/* ThreadTile= 4 x 9 */
/* SubGroup= 16 x 16 */
/* VectorWidthA=1 */
/* VectorWidthB=1 */
/* GlobalLoadVectorWidthA=2, GlobalLoadVectorWidthB=2 */
/* DirectToLdsA=False */
/* DirectToLdsB=False */
/* UseSgprForGRO=False */
.amdgpu_metadata
---
amdhsa.version:
  - 1
  - 1
amdhsa.target: amdgcn-amd-amdhsa--gfx908
amdhsa.kernels:
  - .name: Cijk_Ailk_Bjlk_HHS_BH_MT64x144x32_MI16x16x16x1_SN_1LDSB0_APM1_AF0EM1_AF1EM1_AMAS0_ASE_ASAE01_ASCE01_ASEM1_BL1_DTLA0_DTLB0_DVO0_EPS1_FL0_GLVWA2_GLVWB2_GRVW2_GSU1_GSUASB_ISA908_IU1_K1_KLA_LBSPPA0_LBSPPB0_LPA0_LPB0_LDL1_LRVW4_LDW0_FMA_MDA2_MMFGLC_NTC0_NTD0_NEPBS0_NLCA1_NLCB9_ONLL1_OPLV0_PK0_PAP0_PGR1_PLR2_SIA3_SS0_SU32_SUM0_SUS256_SPO0_SRVW4_SSO0_SVW4_SNLL0_TT1_144_TLDS0_UMLDSA0_UMLDSB0_USFGROn1_VAW2_VSn1_VW1_VWB1_WSGRA1_WSGRB1_WG64_4_1_WGM8
    .symbol: 'Cijk_Ailk_Bjlk_HHS_BH_MT64x144x32_MI16x16x16x1_SN_1LDSB0_APM1_AF0EM1_AF1EM1_AMAS0_ASE_ASAE01_ASCE01_ASEM1_BL1_DTLA0_DTLB0_DVO0_EPS1_FL0_GLVWA2_GLVWB2_GRVW2_GSU1_GSUASB_ISA908_IU1_K1_KLA_LBSPPA0_LBSPPB0_LPA0_LPB0_LDL1_LRVW4_LDW0_FMA_MDA2_MMFGLC_NTC0_NTD0_NEPBS0_NLCA1_NLCB9_ONLL1_OPLV0_PK0_PAP0_PGR1_PLR2_SIA3_SS0_SU32_SUM0_SUS256_SPO0_SRVW4_SSO0_SVW4_SNLL0_TT1_144_TLDS0_UMLDSA0_UMLDSB0_USFGROn1_VAW2_VSn1_VW1_VWB1_WSGRA1_WSGRB1_WG64_4_1_WGM8.kd'
    .language:                   OpenCL C
    .language_version:
      - 2
      - 0
    .args:
      - .name:            Tensor2dSizeA
        .size:            8
        .offset:          0
        .value_kind:      by_value
        .value_type:      u64
      - .name:            Tensor2dSizeB
        .size:            8
        .offset:          8
        .value_kind:      by_value
        .value_type:      u64
      - .name:            AddressD
        .size:            8
        .offset:          16
        .value_kind:      by_value
        .value_type:      u64
      - .name:            AddressC
        .size:            8
        .offset:          24
        .value_kind:      by_value
        .value_type:      u64
      - .name:            AddressA
        .size:            8
        .offset:          32
        .value_kind:      by_value
        .value_type:      u64
      - .name:            AddressB
        .size:            8
        .offset:          40
        .value_kind:      by_value
        .value_type:      u64
      - .name:            Alpha
        .size:            4
        .offset:          48
        .value_kind:      by_value
        .value_type:      u32
      - .name:            Beta
        .size:            4
        .offset:          52
        .value_kind:      by_value
        .value_type:      u32
      - .name:            StridesD
        .size:            8
        .offset:          56
        .value_kind:      by_value
        .value_type:      u64
      - .name:            StridesC
        .size:            8
        .offset:          64
        .value_kind:      by_value
        .value_type:      u64
      - .name:            StridesA
        .size:            8
        .offset:          72
        .value_kind:      by_value
        .value_type:      u64
      - .name:            StridesB
        .size:            8
        .offset:          80
        .value_kind:      by_value
        .value_type:      u64
      - .name:            SizesFree
        .size:            12
        .offset:          88
        .value_kind:      by_value
        .value_type:      u96
      - .name:            SizesSum
        .size:            4
        .offset:          100
        .value_kind:      by_value
        .value_type:      u32
      - .name:            OrigStaggerUIter
        .size:            4
        .offset:          104
        .value_kind:      by_value
        .value_type:      u32
      - .name:            NumWorkGroups0
        .size:            4
        .offset:          108
        .value_kind:      by_value
        .value_type:      u32
      - .name:            NumWorkGroups1
        .size:            4
        .offset:          112
        .value_kind:      by_value
        .value_type:      u32
      - .name:            NumFullBlocks
        .size:            4
        .offset:          116
        .value_kind:      by_value
        .value_type:      u32
      - .name:            WgmRemainder1
        .size:            4
        .offset:          120
        .value_kind:      by_value
        .value_type:      u32
      - .name:            MagicNumberWgmRemainder1
        .size:            4
        .offset:          124
        .value_kind:      by_value
        .value_type:      u32
    .group_segment_fixed_size:   29696
    .kernarg_segment_align:      8
    .kernarg_segment_size:       128
    .max_flat_workgroup_size:    256
    .private_segment_fixed_size: 0
    .sgpr_count:                 63
    .sgpr_spill_count:           0
    .vgpr_count:                 128
    .vgpr_spill_count:           0
    .wavefront_size:             64
...
.end_amdgpu_metadata
Cijk_Ailk_Bjlk_HHS_BH_MT64x144x32_MI16x16x16x1_SN_1LDSB0_APM1_AF0EM1_AF1EM1_AMAS0_ASE_ASAE01_ASCE01_ASEM1_BL1_DTLA0_DTLB0_DVO0_EPS1_FL0_GLVWA2_GLVWB2_GRVW2_GSU1_GSUASB_ISA908_IU1_K1_KLA_LBSPPA0_LBSPPB0_LPA0_LPB0_LDL1_LRVW4_LDW0_FMA_MDA2_MMFGLC_NTC0_NTD0_NEPBS0_NLCA1_NLCB9_ONLL1_OPLV0_PK0_PAP0_PGR1_PLR2_SIA3_SS0_SU32_SUM0_SUS256_SPO0_SRVW4_SSO0_SVW4_SNLL0_TT1_144_TLDS0_UMLDSA0_UMLDSB0_USFGROn1_VAW2_VSn1_VW1_VWB1_WSGRA1_WSGRB1_WG64_4_1_WGM8:

/******************************************/
/* Asm syntax workarounds                 */
/******************************************/
.macro _v_add_co_u32 dst:req, cc:req, src0:req, src1:req, dpp=
   v_add_co_u32 \dst, \cc, \src0, \src1 \dpp
.endm

.macro _v_add_u32 dst:req, src0:req, src1:req, dpp=
   v_add_u32 \dst, \src0, \src1 \dpp
.endm

.macro _v_add_i32 dst:req, src0:req, src1:req, dpp=
   v_add_i32 \dst, \src0, \src1 \dpp
.endm

.macro _v_addc_co_u32 dst:req, ccOut:req, src0:req, ccIn:req, src1:req, dpp=
   v_addc_co_u32 \dst, \ccOut, \src0, \ccIn, \src1 \dpp
.endm

.macro _v_sub_co_u32 dst:req, cc:req, src0:req, src1:req, dpp=
   v_sub_co_u32 \dst, \cc, \src0, \src1 \dpp
.endm

.macro _v_sub_u32 dst:req, src0:req, src1:req, dpp=
   v_sub_u32 \dst, \src0, \src1 \dpp
.endm

.macro _v_sub_i32 dst:req, src0:req, src1:req, dpp=
   v_sub_i32 \dst, \src0, \src1 \dpp
.endm

.macro _v_add_lshl_u32 dst:req, src0:req, src1:req, shiftCnt:req
    v_add_lshl_u32 \dst, \src0, \src1, \shiftCnt
.endm

.macro _v_lshl_add_u32 dst:req, src0:req, src1:req, shiftCnt:req
    v_lshl_add_u32 \dst, \src0, \src1, \shiftCnt
.endm

.macro _v_lshl_or_b32 dst:req, src0:req, shiftCnt:req, src1:req
    v_lshl_or_b32 \dst, \src0, \shiftCnt, \src1
.endm

.macro _v_dot2acc_f32_f16 dst, src0, src1
v_dot2c_f32_f16 \dst, \src0, \src1
.endm

.macro _v_cmpx_lt_i16 dst, src0, src1=
   v_cmpx_lt_i16 \dst, \src0, \src1 
.endm

.macro _v_cmpx_lt_i32 dst, src0, src1=
   v_cmpx_lt_i32 \dst, \src0, \src1 
.endm

.macro _v_cmpx_lt_i64 dst, src0, src1=
   v_cmpx_lt_i64 \dst, \src0, \src1 
.endm

.macro _v_cmpx_lt_u16 dst, src0, src1=
   v_cmpx_lt_u16 \dst, \src0, \src1 
.endm

.macro _v_cmpx_lt_u32 dst, src0, src1=
   v_cmpx_lt_u32 \dst, \src0, \src1 
.endm

.macro _v_cmpx_lt_u64 dst, src0, src1=
   v_cmpx_lt_u64 \dst, \src0, \src1 
.endm

.macro _v_cmpx_eq_i16 dst, src0, src1=
   v_cmpx_eq_i16 \dst, \src0, \src1 
.endm

.macro _v_cmpx_eq_i32 dst, src0, src1=
   v_cmpx_eq_i32 \dst, \src0, \src1 
.endm

.macro _v_cmpx_eq_i64 dst, src0, src1=
   v_cmpx_eq_i64 \dst, \src0, \src1 
.endm

.macro _v_cmpx_eq_u16 dst, src0, src1=
   v_cmpx_eq_u16 \dst, \src0, \src1 
.endm

.macro _v_cmpx_eq_u32 dst, src0, src1=
   v_cmpx_eq_u32 \dst, \src0, \src1 
.endm

.macro _v_cmpx_eq_u64 dst, src0, src1=
   v_cmpx_eq_u64 \dst, \src0, \src1 
.endm

.macro _v_cmpx_le_i16 dst, src0, src1=
   v_cmpx_le_i16 \dst, \src0, \src1 
.endm

.macro _v_cmpx_le_i32 dst, src0, src1=
   v_cmpx_le_i32 \dst, \src0, \src1 
.endm

.macro _v_cmpx_le_i64 dst, src0, src1=
   v_cmpx_le_i64 \dst, \src0, \src1 
.endm

.macro _v_cmpx_le_u16 dst, src0, src1=
   v_cmpx_le_u16 \dst, \src0, \src1 
.endm

.macro _v_cmpx_le_u32 dst, src0, src1=
   v_cmpx_le_u32 \dst, \src0, \src1 
.endm

.macro _v_cmpx_le_u64 dst, src0, src1=
   v_cmpx_le_u64 \dst, \src0, \src1 
.endm

.macro _v_cmpx_gt_i16 dst, src0, src1=
   v_cmpx_gt_i16 \dst, \src0, \src1 
.endm

.macro _v_cmpx_gt_i32 dst, src0, src1=
   v_cmpx_gt_i32 \dst, \src0, \src1 
.endm

.macro _v_cmpx_gt_i64 dst, src0, src1=
   v_cmpx_gt_i64 \dst, \src0, \src1 
.endm

.macro _v_cmpx_gt_u16 dst, src0, src1=
   v_cmpx_gt_u16 \dst, \src0, \src1 
.endm

.macro _v_cmpx_gt_u32 dst, src0, src1=
   v_cmpx_gt_u32 \dst, \src0, \src1 
.endm

.macro _v_cmpx_gt_u64 dst, src0, src1=
   v_cmpx_gt_u64 \dst, \src0, \src1 
.endm

.macro _v_cmpx_ne_i16 dst, src0, src1=
   v_cmpx_ne_i16 \dst, \src0, \src1 
.endm

.macro _v_cmpx_ne_i32 dst, src0, src1=
   v_cmpx_ne_i32 \dst, \src0, \src1 
.endm

.macro _v_cmpx_ne_i64 dst, src0, src1=
   v_cmpx_ne_i64 \dst, \src0, \src1 
.endm

.macro _v_cmpx_ne_u16 dst, src0, src1=
   v_cmpx_ne_u16 \dst, \src0, \src1 
.endm

.macro _v_cmpx_ne_u32 dst, src0, src1=
   v_cmpx_ne_u32 \dst, \src0, \src1 
.endm

.macro _v_cmpx_ne_u64 dst, src0, src1=
   v_cmpx_ne_u64 \dst, \src0, \src1 
.endm

.macro _v_cmpx_lg_i16 dst, src0, src1=
   v_cmpx_lg_i16 \dst, \src0, \src1 
.endm

.macro _v_cmpx_lg_i32 dst, src0, src1=
   v_cmpx_lg_i32 \dst, \src0, \src1 
.endm

.macro _v_cmpx_lg_i64 dst, src0, src1=
   v_cmpx_lg_i64 \dst, \src0, \src1 
.endm

.macro _v_cmpx_lg_u16 dst, src0, src1=
   v_cmpx_lg_u16 \dst, \src0, \src1 
.endm

.macro _v_cmpx_lg_u32 dst, src0, src1=
   v_cmpx_lg_u32 \dst, \src0, \src1 
.endm

.macro _v_cmpx_lg_u64 dst, src0, src1=
   v_cmpx_lg_u64 \dst, \src0, \src1 
.endm

.macro _v_cmpx_ge_i16 dst, src0, src1=
   v_cmpx_ge_i16 \dst, \src0, \src1 
.endm

.macro _v_cmpx_ge_i32 dst, src0, src1=
   v_cmpx_ge_i32 \dst, \src0, \src1 
.endm

.macro _v_cmpx_ge_i64 dst, src0, src1=
   v_cmpx_ge_i64 \dst, \src0, \src1 
.endm

.macro _v_cmpx_ge_u16 dst, src0, src1=
   v_cmpx_ge_u16 \dst, \src0, \src1 
.endm

.macro _v_cmpx_ge_u32 dst, src0, src1=
   v_cmpx_ge_u32 \dst, \src0, \src1 
.endm

.macro _v_cmpx_ge_u64 dst, src0, src1=
   v_cmpx_ge_u64 \dst, \src0, \src1 
.endm

.macro _v_cmpx_o_i16 dst, src0, src1=
   v_cmpx_o_i16 \dst, \src0, \src1 
.endm

.macro _v_cmpx_o_i32 dst, src0, src1=
   v_cmpx_o_i32 \dst, \src0, \src1 
.endm

.macro _v_cmpx_o_i64 dst, src0, src1=
   v_cmpx_o_i64 \dst, \src0, \src1 
.endm

.macro _v_cmpx_o_u16 dst, src0, src1=
   v_cmpx_o_u16 \dst, \src0, \src1 
.endm

.macro _v_cmpx_o_u32 dst, src0, src1=
   v_cmpx_o_u32 \dst, \src0, \src1 
.endm

.macro _v_cmpx_o_u64 dst, src0, src1=
   v_cmpx_o_u64 \dst, \src0, \src1 
.endm

.macro _v_cmpx_u_i16 dst, src0, src1=
   v_cmpx_u_i16 \dst, \src0, \src1 
.endm

.macro _v_cmpx_u_i32 dst, src0, src1=
   v_cmpx_u_i32 \dst, \src0, \src1 
.endm

.macro _v_cmpx_u_i64 dst, src0, src1=
   v_cmpx_u_i64 \dst, \src0, \src1 
.endm

.macro _v_cmpx_u_u16 dst, src0, src1=
   v_cmpx_u_u16 \dst, \src0, \src1 
.endm

.macro _v_cmpx_u_u32 dst, src0, src1=
   v_cmpx_u_u32 \dst, \src0, \src1 
.endm

.macro _v_cmpx_u_u64 dst, src0, src1=
   v_cmpx_u_u64 \dst, \src0, \src1 
.endm
.macro _v_mac_f32 c:req, a:req, b:req
    v_fmac_f32 \c, \a, \b
.endmacro

/* scale global load macros */
.macro _s_load_b32 dst base offset
    s_load_dword \dst \base \offset
.endm

.macro _s_load_b64 dst base offset
    s_load_dwordx2 \dst \base \offset
.endm

.macro _s_load_b128 dst base offset
    s_load_dwordx4 \dst \base \offset
.endm

.macro _s_load_b256 dst base offset
    s_load_dwordx8 \dst \base \offset
.endm

.macro _s_load_b512 dst base offset
    s_load_dwordx16 \dst \base \offset
.endm


/* ds operation macros */
.macro _ds_load_u8 dst src offset
    ds_read_u8 \dst \src \offset
.endm

.macro _ds_load_u8_d16_hi dst src offset
    ds_read_u8_d16_hi \dst \src \offset
.endm

.macro _ds_load_u16 dst src offset
    ds_read_u16 \dst \src \offset
.endm

.macro _ds_load_u16_d16_hi dst src offset
    ds_read_u16_d16_hi \dst \src \offset
.endm

.macro _ds_load_b32 dst src offset
    ds_read_b32 \dst \src \offset
.endm

.macro _ds_load_b64 dst src offset
    ds_read_b64 \dst \src \offset
.endm

.macro _ds_load_b128 dst src offset
    ds_read_b128 \dst \src \offset
.endm

.macro _ds_store_b8 dst src offset
    ds_write_b8 \dst \src \offset
.endm

.macro _ds_store_b8_d16_hi dst src offset
    ds_write_b8_d16_hi \dst \src \offset
.endm

.macro _ds_store_b16 dst src offset
    ds_write_b16 \dst \src \offset
.endm

.macro _ds_store_b16_d16_hi dst src offset
    ds_write_b16_d16_hi \dst \src \offset
.endm

.macro _ds_store_b32 dst src offset
    ds_write_b32 \dst \src \offset
.endm

.macro _ds_store_b64 dst src offset
    ds_write_b64 \dst \src \offset
.endm

.macro _ds_store_b128 dst src offset
    ds_write_b128 \dst \src \offset
.endm

.macro _ds_load2_b32 dst src offset1 offset2
    ds_read2_b32 \dst \src \offset1 \offset2
.endm

.macro _ds_load2_b64 dst src offset1 offset2
    ds_read2_b64 \dst \src \offset1 \offset2
.endm

.macro _ds_store2_b32 dst src offset1 offset2
    ds_write2_b32 \dst \src \offset1 \offset2
.endm

.macro _ds_store2_b64 dst src offset1 offset2
    ds_write2_b64 \dst \src \offset1 \offset2
.endm


/* buffer memory operation macros */
.macro _buffer_load_b32 dst voffset base soffset offen ioffset md0 md1 md2
    buffer_load_dword \dst \voffset \base \soffset \offen \ioffset \md0 \md1 \md2
.endm

.macro _buffer_load_b64 dst voffset base soffset offen ioffset md0 md1 md2
    buffer_load_dwordx2 \dst \voffset \base \soffset \offen \ioffset \md0 \md1 \md2
.endm

.macro _buffer_load_b96 dst voffset base soffset offen ioffset md0 md1 md2
    buffer_load_dwordx3 \dst \voffset \base \soffset \offen \ioffset \md0 \md1 \md2
.endm

.macro _buffer_load_b128 dst voffset base soffset offen ioffset md0 md1 md2
    buffer_load_dwordx4 \dst \voffset \base \soffset \offen \ioffset \md0 \md1 \md2
.endm

.macro _buffer_load_d16_b16 dst voffset base soffset offen ioffset md0 md1 md2
    buffer_load_short_d16 \dst \voffset \base \soffset \offen \ioffset \md0 \md1 \md2
.endm

.macro _buffer_load_d16_hi_b16 dst voffset base soffset offen ioffset md0 md1 md2
    buffer_load_short_d16_hi \dst \voffset \base \soffset \offen \ioffset \md0 \md1 \md2
.endm

.macro _buffer_load_d16_u8 dst voffset base soffset offen ioffset md0 md1 md2
    buffer_load_ubyte_d16 \dst \voffset \base \soffset \offen \ioffset \md0 \md1 \md2
.endm

.macro _buffer_load_d16_hi_u8 dst voffset base soffset offen ioffset md0 md1 md2
    buffer_load_ubyte_d16_hi \dst \voffset \base \soffset \offen \ioffset \md0 \md1 \md2
.endm

.macro _buffer_load_u16 dst voffset base soffset offen ioffset md0 md1 md2
    buffer_load_ushort \dst \voffset \base \soffset \offen \ioffset \md0 \md1 \md2
.endm

.macro _buffer_load_b32_dtl voffset base soffset offen ioffset md0 md1 md2
    buffer_load_dword \voffset \base \soffset \offen \ioffset \md0 \md1 \md2
.endm

.macro _buffer_load_b64_dtl voffset base soffset offen ioffset md0 md1 md2
    buffer_load_dwordx2 \voffset \base \soffset \offen \ioffset \md0 \md1 \md2
.endm

.macro _buffer_load_b128_dtl voffset base soffset offen ioffset md0 md1 md2
    buffer_load_dwordx4 \voffset \base \soffset \offen \ioffset \md0 \md1 \md2
.endm

.macro _buffer_load_u16_dtl voffset base soffset offen ioffset md0 md1 md2
    buffer_load_ushort \voffset \base \soffset \offen \ioffset \md0 \md1 \md2
.endm

.macro _buffer_store_b32 src voffset base soffset offen ioffset md0 md1 md2
    buffer_store_dword \src \voffset \base \soffset \offen \ioffset \md0 \md1 \md2
.endm

.macro _buffer_store_b64 src voffset base soffset offen ioffset md0 md1 md2
    buffer_store_dwordx2 \src \voffset \base \soffset \offen \ioffset \md0 \md1 \md2
.endm

.macro _buffer_store_b96 src voffset base soffset offen ioffset md0 md1 md2
    buffer_store_dwordx3 \src \voffset \base \soffset \offen \ioffset \md0 \md1 \md2
.endm

.macro _buffer_store_b128 src voffset base soffset offen ioffset md0 md1 md2
    buffer_store_dwordx4 \src \voffset \base \soffset \offen \ioffset \md0 \md1 \md2
.endm

.macro _buffer_store_b16 src voffset base soffset offen ioffset md0 md1 md2
    buffer_store_short \src \voffset \base \soffset \offen \ioffset \md0 \md1 \md2
.endm

.macro _buffer_store_d16_hi_b16 src voffset base soffset offen ioffset md0 md1 md2
    buffer_store_short_d16_hi \src \voffset \base \soffset \offen \ioffset \md0 \md1 \md2
.endm

.macro _buffer_store_b8 src voffset base soffset offen ioffset md0 md1 md2
    buffer_store_byte \src \voffset \base \soffset \offen \ioffset \md0 \md1 \md2
.endm

.macro _buffer_store_d16_hi_b8 src voffset base soffset offen ioffset md0 md1 md2
    buffer_store_byte_d16_hi \src \voffset \base \soffset \offen \ioffset \md0 \md1 \md2
.endm

.macro _buffer_atomic_cmpswap_b32 dst voffset base soffset offen ioffset md0 md1 md2
    buffer_atomic_cmpswap \dst \voffset \base \soffset \offen \ioffset \md0 \md1 \md2
.endm

.macro _buffer_atomic_cmpswap_b64 dst voffset base soffset offen ioffset md0 md1 md2
    buffer_atomic_cmpswap_x2 \dst \voffset \base \soffset \offen \ioffset \md0 \md1 \md2
.endm


/* buffer memory operation macros */
.macro _global_load_b32 dst base src ioffset md0 md1 md2
    global_load_dword \dst \base \src \ioffset \md0 \md1 \md2
.endm

.macro _global_load_b64 dst base src ioffset md0 md1 md2
    global_load_dwordx2 \dst \base \src \ioffset \md0 \md1 \md2
.endm

.macro _global_load_b96 dst base src ioffset md0 md1 md2
    global_load_dwordx3 \dst \base \src \ioffset \md0 \md1 \md2
.endm

.macro _global_load_b128 dst base src ioffset md0 md1 md2
    global_load_dwordx4 \dst \base \src \ioffset \md0 \md1 \md2
.endm

.macro _global_load_d16_b16 dst base src ioffset md0 md1 md2
    global_load_short_d16 \dst \base \src \ioffset \md0 \md1 \md2
.endm

.macro _global_load_d16_hi_b16 dst base src ioffset md0 md1 md2
    global_load_short_d16_hi \dst \base \src \ioffset \md0 \md1 \md2
.endm

.macro _global_load_d16_u8 dst base src ioffset md0 md1 md2
    global_load_ubyte_d16 \dst \base \src \ioffset \md0 \md1 \md2
.endm

.macro _global_load_d16_hi_u8 dst base src ioffset md0 md1 md2
    global_load_ubyte_d16_hi \dst \base \src \ioffset \md0 \md1 \md2
.endm

.macro _global_load_u16 dst base src ioffset md0 md1 md2
    global_load_ushort \dst \base \src \ioffset \md0 \md1 \md2
.endm

.macro _global_store_b32 base src src2 md0 md1 md2
    global_store_dword \base \src \src2 \md0 \md1 \md2
.endm

.macro _global_store_b64 base src src2 md0 md1 md2
    global_store_dwordx2 \base \src \src2 \md0 \md1 \md2
.endm

.macro _global_store_b96 base src src2 md0 md1 md2
    global_store_dwordx3 \base \src \src2 \md0 \md1 \md2
.endm

.macro _global_store_b128 base src src2 md0 md1 md2
    global_store_dwordx4 \base \src \src2 \md0 \md1 \md2
.endm

.macro _global_store_d16_b16 base src src2 md0 md1 md2
    global_store_short \base \src \src2 \md0 \md1 \md2
.endm

.macro _global_store_d16_hi_b16 base src src2 md0 md1 md2
    global_store_short_d16_hi \base \src \src2 \md0 \md1 \md2
.endm

.macro _global_store_d16_u8 base src src2 md0 md1 md2
    global_store_ubyte_d16 \base \src \src2 \md0 \md1 \md2
.endm

.macro _global_store_d16_hi_u8 base src src2 md0 md1 md2
    global_store_ubyte_d16_hi \base \src \src2 \md0 \md1 \md2
.endm

.macro _global_store_u16 base src src2 md0 md1 md2
    global_store_ushort \base \src \src2 \md0 \md1 \md2
.endm

.macro _global_atomic_cmpswap_b32 tmp base data src ioffset md
    global_atomic_cmpswap \tmp \base \data \src \ioffset \md
.endm

.macro _global_atomic_cmpswap_b64 tmp base data src ioffset md
    global_atomic_cmpswap_x2 \tmp \base \data \src \ioffset \md
.endm


/******************************************/
/* Magic div and mod functions            */
/******************************************/
.macro V_MAGIC_DIV dstIdx:req, dividend:req, magicNumber:req, magicShift:req, magicA:req
    v_mul_hi_u32 v[\dstIdx+1], \dividend, \magicNumber
    v_mul_lo_u32 v[\dstIdx+0], \dividend, \magicA
    _v_add_u32 v[\dstIdx+0], v[\dstIdx+0], v[\dstIdx+1]
    v_lshrrev_b32 v[\dstIdx+0], \magicShift, v[\dstIdx+0]
.endm

/******************************************/
/* VGPR Assignments                       */
/******************************************/
/* ValuC range: [0-0), serializedStore enabled */
.set vgprValuC, 0
/* ValuA/B   Xn=PLR buffer idx,  In=InnerUnroll idx */
.set vgprValuA_X0_I0, 0
.set vgprValuA_X1_I0, 2
.set vgprG2LA, 56
.set vgprValuB_X0_I0, 4
.set vgprValuB_X1_I0, 22
.set vgprG2LB, 60
.set vgprLocalWriteAddrA, 40
.set vgprLocalWriteAddrB, 41
.set vgprGlobalReadOffsetA, 42
.set vgprGlobalReadOffsetB, 46
.set vgprLocalReadAddrA, 69
.set vgprLocalReadAddrB, 70
.set vgprSerial, 71
/* Num VGPR=128 */
/* Num AccVGPR=36 */

/******************************************/
/* SGPR Assignments                       */
/******************************************/
.set sgprKernArgAddress, 0 // (2)
.set sgprWorkGroup0, 2 // (1)
.set sgprWorkGroup1, 3 // (1)
.set sgprWorkGroup2, 4 // (1)
.set sgprLoopCounterL, 5 // (1)
.set sgprOrigLoopCounter, 6 // (1)
.set sgprSrdA, 8 // (4)
.set sgprSrdB, 12 // (4)
.set sgprSrdD, 16 // (4)
.set sgprSrdC, 20 // (4)
.set sgprTensor2dSizeA, 24 // (2)
.set sgprTensor2dSizeB, 26 // (2)
.set sgprAddressD, 28 // (2)
.set sgprAddressC, 30 // (2)
.set sgprAddressA, 32 // (2)
.set sgprAddressB, 34 // (2)
.set sgprAlpha, 36 // (1)
.set sgprBeta, 37 // (1)
.set sgprStridesD, 38 // (2)
.set sgprStridesC, 40 // (2)
.set sgprStridesA, 42 // (2)
.set sgprStridesB, 44 // (2)
.set sgprSizesFree, 46 // (3)
.set sgprSizesSum, 49 // (1)
.set sgprOrigStaggerUIter, 50 // (1)
.set sgprNumWorkGroups0, 51 // (1)
.set sgprNumWorkGroups1, 52 // (1)
.set sgprNumFullBlocks, 53 // (1)
.set sgprWgmRemainder1, 54 // (1)
.set sgprMagicNumberWgmRemainder1, 55 // (1)
.set sgprShadowLimitA, 0 // (2)
.set sgprShadowLimitB, 28 // (2)
.set sgprStaggerUIter, 7 // (1)
.set sgprWrapUA, 30 // (2)
.set sgprWrapUB, 32 // (2)
.set sgprGlobalReadIncsA, 34 // (1)
.set sgprGlobalReadIncsB, 35 // (1)
/* max SGPR=63 */

/* Size Assignments */
.set sgprSizeI, sgprSizesFree+0
.set sgprSizeJ, sgprSizesFree+1
.set sgprSizeK, sgprSizesFree+2
.set sgprSizeL, sgprSizesSum+0

/* Stride Assignments */
.set constStrideD0I, 1
.set sgprStrideD1J, sgprStridesD+0
.set sgprStrideDK, sgprStridesD+1
.set constStrideC0I, 1
.set sgprStrideC1J, sgprStridesC+0
.set sgprStrideCK, sgprStridesC+1
.set constStrideA0I, 1
.set sgprStrideAL, sgprStridesA+0
.set sgprStrideAK, sgprStridesA+1
.set constStrideB1J, 1
.set sgprStrideBL, sgprStridesB+0
.set sgprStrideBK, sgprStridesB+1

.set MT0, 64
.set MT1, 144
.set DepthU, 32
.set GSU, 1
.set BpeA, 2
.set BpeALog2, 1
.set BpeB, 2
.set BpeBLog2, 1
/* Number of elements to shift-left SRD */
.set SrdShiftLeftA, 2
.set SrdShiftLeftB, 2
/* 2GB limit - set offsets to -1 to exceed this and clamp */
.set BufferLimitA, 0xffffffff
.set BufferLimitB, 0xffffffff
.set BufferOOB, 0xfffff000

/******************************************/
/* Bits 127:96 of SRD.                    */
/* hex: 0x00020000                        */
/* dst_sel_x (3b): 0                      */
/* dst_sel_y (3b): 0                      */
/* dst_sel_z (3b): 0                      */
/* dst_sel_w (3b): 0                      */
/* num_format (3b): 0                     */
/* data_format (4b): 4                    */
/* user_vm_enable (1b): 0                 */
/* user_vm_mode (1b): 0                   */
/* index_stride (2b): 0                   */
/* add_tid_enable (1b): 0                 */
/* _unusedA (3b): 0                       */
/* nv (1b): 0                             */
/* _unusedB (2b): 0                       */
/* type (2b): 0                           */
/******************************************/
.set Srd127_96, 0x00020000

/* Global Offset A */
.macro GLOBAL_OFFSET_A vgprAddr:req vgprOffset0I:req vgprOffsetL:req vgprTmp:req
v_mul_lo_u32 v[\vgprTmp+0], s[sgprStrideAL], v[\vgprOffsetL] // mul d1 lower
_v_add_co_u32 v[\vgprAddr+0], vcc, v[\vgprOffset0I], v[\vgprTmp+0] // accumulate K lower
_v_add_u32 v[\vgprAddr+0], 0x2, v[\vgprAddr+0]     // add prepad for pointer shift
v_lshlrev_b32 v[\vgprAddr+0], 0x1, v[\vgprAddr+0]  // offset *= bytes/element
.endm

/* Global Offset B */
.macro GLOBAL_OFFSET_B vgprAddr:req vgprOffset1J:req vgprOffsetL:req vgprTmp:req
v_mul_lo_u32 v[\vgprTmp+0], s[sgprStrideBL], v[\vgprOffsetL] // mul d1 lower
_v_add_co_u32 v[\vgprAddr+0], vcc, v[\vgprOffset1J], v[\vgprTmp+0] // accumulate K lower
_v_add_u32 v[\vgprAddr+0], 0x2, v[\vgprAddr+0]     // add prepad for pointer shift
v_lshlrev_b32 v[\vgprAddr+0], 0x1, v[\vgprAddr+0]  // offset *= bytes/element
.endm

/******************************************/
/* Dynamic Scalar Divide: vQuotient=vDividend/vDivisor; vRemainder=vDividend%vDivisor; */
/******************************************/
.macro DYNAMIC_VECTOR_DIVIDE vQuotient vRemainder vDividend vDivisor vTmp0 vTmp1 sTmp
v_cvt_f32_u32 v[\vQuotient], v[\vDivisor]          // 
v_rcp_f32 v[\vQuotient], v[\vQuotient]             // 
v_mul_f32 v[\vQuotient], 0x4f800000, v[\vQuotient] // 
v_cvt_u32_f32 v[\vQuotient], v[\vQuotient]         // 
v_mul_lo_u32 v[\vRemainder], v[\vDivisor], v[\vQuotient] // 
v_mul_hi_u32 v[\vTmp0], v[\vDivisor], v[\vQuotient] // 
_v_sub_co_u32 v[\vTmp1], vcc, 0x0, v[\vRemainder]  // 
v_cmp_ne_i32 s[\sTmp:\sTmp+1], 0x0, v[\vTmp0]      // 
v_cndmask_b32 v[\vRemainder], v[\vTmp1], v[\vRemainder], s[\sTmp:\sTmp+1] // 
v_mul_hi_u32 v[\vRemainder], v[\vRemainder], v[\vQuotient] // 
_v_sub_co_u32 v[\vTmp0], vcc, v[\vQuotient], v[\vRemainder] // 
_v_add_co_u32 v[\vQuotient], vcc, v[\vQuotient], v[\vRemainder] // 
v_cndmask_b32 v[\vQuotient], v[\vQuotient], v[\vTmp0], s[\sTmp:\sTmp+1] // 
v_mul_hi_u32 v[\vQuotient], v[\vQuotient], v[\vDividend] // 
v_mul_lo_u32 v[\vRemainder], v[\vQuotient], v[\vDivisor] // 
_v_sub_co_u32 v[\vTmp0], vcc, v[\vDividend], v[\vRemainder] // 
v_cmp_ge_u32 s[\sTmp:\sTmp+1], v[\vDividend], v[\vRemainder] // 
_v_add_co_u32 v[\vRemainder], vcc, 0x1, v[\vQuotient] // 
_v_add_co_u32 v[\vTmp1], vcc, -1, v[\vQuotient]    // 
v_cmp_le_u32 vcc, v[\vDivisor], v[\vTmp0]          // 
s_and_b64 vcc, s[\sTmp:\sTmp+1], vcc               // 
v_cndmask_b32 v[\vQuotient], v[\vQuotient], v[\vRemainder], vcc // 
v_cndmask_b32 v[\vQuotient], v[\vTmp1], v[\vQuotient], s[\sTmp:\sTmp+1] // 
v_cmp_ne_i32 vcc, 0x0, v[\vDivisor]                // 
v_cndmask_b32 v[\vQuotient], -1, v[\vQuotient], vcc // final result
v_mul_lo_u32 v[\vRemainder], v[\vQuotient], v[\vDivisor] // 
_v_sub_co_u32 v[\vRemainder], vcc, v[\vDividend], v[\vRemainder] // final result
.endm


	;; [unrolled: 1-line block ×3, first 2 shown]
/******************************************/
/* Allocate Resources                     */
/******************************************/

Cijk_Ailk_Bjlk_HHS_BH_MT64x144x32_MI16x16x16x1_SN_1LDSB0_APM1_AF0EM1_AF1EM1_AMAS0_ASE_ASAE01_ASCE01_ASEM1_BL1_DTLA0_DTLB0_DVO0_EPS1_FL0_GLVWA2_GLVWB2_GRVW2_GSU1_GSUASB_ISA908_IU1_K1_KLA_LBSPPA0_LBSPPB0_LPA0_LPB0_LDL1_LRVW4_LDW0_FMA_MDA2_MMFGLC_NTC0_NTD0_NEPBS0_NLCA1_NLCB9_ONLL1_OPLV0_PK0_PAP0_PGR1_PLR2_SIA3_SS0_SU32_SUM0_SUS256_SPO0_SRVW4_SSO0_SVW4_SNLL0_TT1_144_TLDS0_UMLDSA0_UMLDSB0_USFGROn1_VAW2_VSn1_VW1_VWB1_WSGRA1_WSGRB1_WG64_4_1_WGM8_preloaded: // Kernel start when preloading

/* Load Kernel Args */
_s_load_b512 s[24:39], s[sgprKernArgAddress:sgprKernArgAddress+1], 0x0 // 
_s_load_b512 s[40:55], s[sgprKernArgAddress:sgprKernArgAddress+1], 0x40 // 
s_mov_b32 m0, 0x7400                               // LDS clamp at 29696 bytes
v_mov_b32 v[vgprSerial], v0                        // thread serial id

/******************************************/
/* Local Read Addresses                   */
/******************************************/


/* local read addresses: tile assignments a/b */

/*lr0I*/
v_and_b32 v1, 63, v[vgprSerial]                    // 0. thread id in wave: wtid = tid % wavelength(64)
v_and_b32 v0, 15, v1                               // 1. N offset: nIdx = wtid % MI_N(16)
                                                   // 1. N offset: nOffset = nIdx * nStride(1) (multiplier is 1, do nothing)
                                                   // 2. block offset: bnIdx = bnIdx % num1DBlocks(1) is 0. do nothing
                                                   // 4. apply VectorWidth: bnOffset = bnOffset * vw(1) (multiplier is 1, do nothing)
v_lshrrev_b32 v1, 4, v1                            // 5. K offset: kIdx = wtid / (MIN(16) * MIBB(1))
v_lshlrev_b32 v1, 0x8, v1                          // 5. K offset: lrKOffset = kIdx * mStride(256)
_v_add_u32 v0, v1, v0                              // 6. offset in wave: lrOffset = bnOffset + lrKOffset
v_lshrrev_b32 v2, 6, v[vgprSerial]                 // 7. wave offset in N dimen: wtid = tid / dividedForWaveId(64)
v_and_b32 v1, 3, v2                                // 7. wave offset in M dimen: wtid0 = wtid / num1DWaves(4)
v_lshlrev_b32 v1, 0x4, v1                          // 7. wave offset in M dimen: wOffset = wtid0 * W0Stride(16)
_v_add_u32 v0, v1, v0                              // 8. final local read offset: flrOffset = lrOffset + WOffset
/*lr1J*/
v_and_b32 v2, 63, v[vgprSerial]                    // 0. thread id in wave: wtid = tid % wavelength(64)
v_and_b32 v1, 15, v2                               // 1. N offset: nIdx = wtid % MI_N(16)
                                                   // 1. N offset: nOffset = nIdx * nStride(1) (multiplier is 1, do nothing)
                                                   // 2. block offset: bnIdx = bnIdx % num1DBlocks(1) is 0. do nothing
                                                   // 4. apply VectorWidth: bnOffset = bnOffset * vw(1) (multiplier is 1, do nothing)
v_lshrrev_b32 v2, 4, v2                            // 5. K offset: kIdx = wtid / (MIN(16) * MIBB(1))
s_mov_b32 s7, 0x240                                // 5. K offset: lrKOffset = kIdx * mStride(576)
v_mul_lo_u32 v2, s7, v2                            // 5. K offset: lrKOffset = kIdx * mStride(576)
_v_add_u32 v1, v2, v1                              // 6. offset in wave: lrOffset = bnOffset + lrKOffset


/* local read addresses: final offsets a */

v_lshlrev_b32 v[vgprLocalReadAddrA], 0x1, v0       // Final Offset: offset = (lro0)*bpe


/* local read addresses: final offsets b */

v_lshlrev_b32 v[vgprLocalReadAddrB], 0x1, v1       // Final Offset: offset = (lro1)*bpe


/* local read addresses: declare addresses a */

/* N/A */


/* local read addresses: declare addresses b */

_v_add_co_u32 v[vgprLocalReadAddrB+0], vcc, 0x1000, v[vgprLocalReadAddrB+0] //  += LdsOffsetB (lower)


/* global read addresses: tile offset assignment a */

/* LVCA = 32 */
/* v0 = (local)groA-tile = serial%LVCA (note (wgA*MTA) will be added to SRD) */
/* v1 = groA-unroll = serial/LVCA */
v_and_b32 v2, 63, v[vgprSerial]                    // v2 = v[vgprSerial] % 64
v_lshrrev_b32 v1, 5, v2                            // v1 = v2 / 32
v_and_b32 v0, 31, v2                               // v0 = v2 % 32
v_readfirstlane_b32 s56, v[vgprSerial]             // WaveIdxWavefrontWidth
s_lshr_b32 s56, s56, 0x6                           // WaveId
s_mul_i32 s56, s56, 8                              // Global Read Wave: each wave loads continuous lsp(2)*nrp(4) columns
_v_add_u32 v1, s56, v1                             // Global Read Wave: add back to column index
/* gro-tile *= glvw */
v_lshlrev_b32 v0, 0x1, v0                          // v0 = v0 * 2


/* global read addresses: tile offset assignment b */

/* LVCB = 8 */
/* v2 = (local)groB-tile = serial%LVCB (note (wgB*MTB) will be added to SRD) */
/* v3 = groB-unroll = serial/LVCB */
v_and_b32 v4, 63, v[vgprSerial]                    // v4 = v[vgprSerial] % 64
v_lshrrev_b32 v3, 3, v4                            // v3 = v4 / 8
v_and_b32 v2, 7, v4                                // v2 = v4 % 8
v_readfirstlane_b32 s56, v[vgprSerial]             // WaveIdxWavefrontWidth
s_lshr_b32 s56, s56, 0x6                           // WaveId
s_mul_i32 s56, s56, 8                              // Global Read Wave: each wave loads continuous lsp(8)*nrp(1) columns
_v_add_u32 v3, s56, v3                             // Global Read Wave: add back to column index
/* gro-tile *= glvw */
v_lshlrev_b32 v2, 0x1, v2                          // v2 = v2 * 2


/******************************************/
/* Local Write Addresses                  */
/******************************************/

/* lwaTileAssignmentA = v0 */

/* lwaTileAssignmentB = v2 */

/* lwaUnrollAssignmentA = v1 */

/* lwaUnrollAssignmentB = v3 */


/* local write addresses: first offset a */

v_mul_u32_u24 v[vgprLocalWriteAddrA], 0x40, v1     // lwAL**(MTA + PAD)
_v_add_lshl_u32 v[vgprLocalWriteAddrA], v0, v[vgprLocalWriteAddrA], 0x1 // lwFOA = (lwAA + lwAL*(MT0I+PAD))*bpe


/* local write addresses: first offset b */

v_mul_u32_u24 v[vgprLocalWriteAddrB], 0x90, v3     // lwBL**(MTB + PAD)
_v_add_lshl_u32 v[vgprLocalWriteAddrB], v2, v[vgprLocalWriteAddrB], 0x1 // lwFOB = (lwBB + lwBL*(MT1J+PAD))*bpe
_v_add_co_u32 v[vgprLocalWriteAddrB], vcc, 0x1000, v[vgprLocalWriteAddrB] // lwFOB = lwB1J + lwBL*MT1J + LDS_OFFSET_B=2048*2


	;; [unrolled: 1-line block ×7, first 2 shown]
s_waitcnt lgkmcnt(0)                               // wait for 128 bytes of kern args
s_mov_b64 s[sgprSrdC+0:sgprSrdC+0+1], s[sgprAddressC+0:sgprAddressC+0+1] // copy addressC
s_mov_b64 s[sgprSrdD+0:sgprSrdD+0+1], s[sgprAddressD+0:sgprAddressD+0+1] // copy addressD
s_sub_u32 s[sgprSrdA+0], s[sgprAddressA+0], 4      // pre-pad to make room for possible pointer shift
s_subb_u32 s[sgprSrdA+1], s[sgprAddressA+1], 0     // pre-pad to make room for possible pointer shift
s_sub_u32 s[sgprSrdB+0], s[sgprAddressB+0], 4      // pre-pad to make room for possible pointer shift
s_subb_u32 s[sgprSrdB+1], s[sgprAddressB+1], 0     // pre-pad to make room for possible pointer shift

.set AddressD, UNDEF
.set AddressC, UNDEF
.set AddressA, UNDEF
.set AddressB, UNDEF

/* Short circuit condition if Alpha == 0, then sumDims=0 */
v_cmp_eq_f32 vcc, s[sgprAlpha], 0.0                // Alpha == 0.0f ?
s_cbranch_vccz label_AlphaNonZero                  // branch if alpha != 0
s_mov_b32 s[sgprSizesSum+0], 0x0                   // Set summation dim=0 if Alpha == 0
label_AlphaNonZero:


	;; [unrolled: 1-line block ×3, first 2 shown]
/******************************************/
/* Begin setupNewTile, isPap=False           */
/******************************************/


/* global read addresses: work-group */

/* graWorkGroup mapping */
s_mov_b32 s61, 0x10000001L                         // magic number for WGM==8
s_mul_hi_u32 s59, s[sgprWorkGroup1], s61           // s_magic mul
s_mul_i32 s58, s[sgprWorkGroup1], s61              // s_magic mul
s_lshr_b64 s[58:59], s[58:59], 31                  // sMagicDiv
s_mul_i32 s59, s58, 8                              // quotient * non-magic divisor
s_sub_u32 s59, s[sgprWorkGroup1], s59              // WorkGroup1=remainder
s_mul_i32 s59, s59, s[sgprNumWorkGroups0]          // (wg1 % WGM)*nwg0
s_add_u32 s59, s59, s[sgprWorkGroup0]              // wgSerial = wg0 + (wg1 % WGM)*nwg1
s_cmp_ge_u32 s58, s[sgprNumFullBlocks]             // blockId >= numFullBlocks ?
s_cmov_b32 s61, s[sgprMagicNumberWgmRemainder1]    // 
s_cselect_b32 s60, s[sgprWgmRemainder1], 8         // 
s_mul_hi_u32 s3, s59, s61                          // s_magic mul
s_mul_i32 s2, s59, s61                             // s_magic mul
s_lshr_b64 s[2:3], s[2:3], 31                      // sMagicDiv
s_mul_i32 s[sgprWorkGroup1], s[sgprWorkGroup0], s60 // quotient * non-magic divisor
s_sub_u32 s[sgprWorkGroup1], s59, s[sgprWorkGroup1] // WorkGroup1=remainder
s_mul_i32 s58, s58, 8                              // blockId * WGM
s_add_u32 s[sgprWorkGroup1], s[sgprWorkGroup1], s58 // wg1 += blockId * WGM


/* global read addresses: unroll assignment a */

/* v1 */


/* global read addresses: unroll assignment b */

/* v3 */


/* global read addresses: other free assignments */

/* s[sgprWorkGroup2] */


/* global read addresses: tile offsets a */

v_mov_b32 v4, v0                                   // groA0I_0


/* global read addresses: tile offsets b */

v_mov_b32 v5, v2                                   // groB1J_0
_v_add_co_u32 v6, vcc, 16, v5                      // groB1J_1 += LSCB
_v_add_co_u32 v7, vcc, 16, v6                      // groB1J_2 += LSCB
_v_add_co_u32 v8, vcc, 16, v7                      // groB1J_3 += LSCB
_v_add_co_u32 v9, vcc, 16, v8                      // groB1J_4 += LSCB
_v_add_co_u32 v10, vcc, 16, v9                     // groB1J_5 += LSCB
_v_add_co_u32 v11, vcc, 16, v10                    // groB1J_6 += LSCB
_v_add_co_u32 v12, vcc, 16, v11                    // groB1J_7 += LSCB
_v_add_co_u32 v13, vcc, 16, v12                    // groB1J_8 += LSCB


/* global read addresses: unroll offsets a */

v_mov_b32 v14, v1                                  // groAL_0
_v_add_co_u32 v15, vcc, 2, v14                     // groAL_1 + LSPA
_v_add_co_u32 v16, vcc, 2, v15                     // groAL_2 + LSPA
_v_add_co_u32 v17, vcc, 2, v16                     // groAL_3 + LSPA


/* global read addresses: unroll offsets b */

v_mov_b32 v18, v3                                  // groBL_0


/* global read addresses: shift a */

s_mul_i32 s58, s[sgprWorkGroup0], 64               // WorkGroup[01] * MT
s_sub_u32 s58, s[sgprSizeI], s58                   // edge = Size0I - WG*MT
s_sub_u32 s58, s58, 2                              // edge -= margin(2)
v_mov_b32 v19, s58                                 // edge vgpr = Size0I- WG*MT - margin(2)
v_min_i32 v4, v19, v4                              // offset = (offset < edge) ? offset(v4) : edge(v19)


/* global read addresses: shift b */

s_mul_i32 s58, s[sgprWorkGroup1], 144              // WorkGroup[01] * MT
s_sub_u32 s58, s[sgprSizeJ], s58                   // edge = Size1J - WG*MT
s_sub_u32 s58, s58, 2                              // edge -= margin(2)
v_mov_b32 v19, s58                                 // edge vgpr = Size1J- WG*MT - margin(2)
v_min_i32 v5, v19, v5                              // offset = (offset < edge) ? offset(v5) : edge(v19)
v_min_i32 v6, v19, v6                              // offset = (offset < edge) ? offset(v6) : edge(v19)
	;; [unrolled: 1-line block ×5, first 2 shown]
v_min_i32 v10, v19, v10                            // offset = (offset < edge) ? offset(v10) : edge(v19)
v_min_i32 v11, v19, v11                            // offset = (offset < edge) ? offset(v11) : edge(v19)
v_min_i32 v12, v19, v12                            // offset = (offset < edge) ? offset(v12) : edge(v19)
v_min_i32 v13, v19, v13                            // offset = (offset < edge) ? offset(v13) : edge(v19)


/* global read addresses: final offsets a */

GLOBAL_OFFSET_A vgprGlobalReadOffsetA+0,  4, 14, 19 // gROA_0_0_0_0
GLOBAL_OFFSET_A vgprGlobalReadOffsetA+1,  4, 15, 19 // gROA_0_0_1_0
GLOBAL_OFFSET_A vgprGlobalReadOffsetA+2,  4, 16, 19 // gROA_0_0_2_0
GLOBAL_OFFSET_A vgprGlobalReadOffsetA+3,  4, 17, 19 // gROA_0_0_3_0


/* global read addresses: final offsets b */

GLOBAL_OFFSET_B vgprGlobalReadOffsetB+0,  5, 18, 14 // gROB_0_0_0_0
GLOBAL_OFFSET_B vgprGlobalReadOffsetB+1,  6, 18, 14 // gROB_1_0_0_0
GLOBAL_OFFSET_B vgprGlobalReadOffsetB+2,  7, 18, 14 // gROB_2_0_0_0
GLOBAL_OFFSET_B vgprGlobalReadOffsetB+3,  8, 18, 14 // gROB_3_0_0_0
GLOBAL_OFFSET_B vgprGlobalReadOffsetB+4,  9, 18, 14 // gROB_4_0_0_0
GLOBAL_OFFSET_B vgprGlobalReadOffsetB+5, 10, 18, 14 // gROB_5_0_0_0
GLOBAL_OFFSET_B vgprGlobalReadOffsetB+6, 11, 18, 14 // gROB_6_0_0_0
GLOBAL_OFFSET_B vgprGlobalReadOffsetB+7, 12, 18, 14 // gROB_7_0_0_0
GLOBAL_OFFSET_B vgprGlobalReadOffsetB+8, 13, 18, 14 // gROB_8_0_0_0


/* global read addresses: addresses a */

/* max read offset = size[n] * stride[n-1] */
s_mul_hi_u32 s61, s[sgprWorkGroup0], 64            // WorkGroup[01] * MT
s_mul_i32 s60, s[sgprWorkGroup0], 64               // WorkGroup[01] * MT
s_sub_u32 s[sgprShadowLimitA+0], s[sgprTensor2dSizeA], s60 // sub tileStart
s_subb_u32 s[sgprShadowLimitA+1], s[sgprTensor2dSizeA+1], s61 // sub tileStart
s_lshl_b64 s[sgprShadowLimitA:sgprShadowLimitA+1], s[sgprShadowLimitA:sgprShadowLimitA+1], 0x1 // Set limit to use bytes
s_add_u32 s[sgprShadowLimitA+0], s[sgprShadowLimitA+0], 4 // extend limit for pre-pad
s_addc_u32 s[sgprShadowLimitA+1], s[sgprShadowLimitA+1], 0 // extend limit for pre-pad
s_cmp_eq_u32 s[sgprShadowLimitA+1], 0              // are we within 2^32?
s_cselect_b32 s[sgprSrdA+2], s[sgprShadowLimitA+0], BufferLimitA // Move shadow to real if we are within 2^32
s_mul_hi_u32 s59, s[sgprStrideAK], s[sgprWorkGroup2] // Stride*WG
s_mul_i32 s58, s[sgprStrideAK], s[sgprWorkGroup2]  // Stride*WG
s_add_u32 s60, s60, s58                            // accum wg term to tilestart
s_addc_u32 s61, s61, s59                           // accum wg term to tilestart
s_lshl_b64 s[60:61], s[60:61], 0x1                 // tileStart *= BPE
s_add_u32 s[sgprSrdA+0], s[sgprSrdA+0], s60        // SRD base = Address+ tileStart0
s_addc_u32 s[sgprSrdA+1], s[sgprSrdA+1], s61       // SRD base = Address+ tileStart1
s_mov_b32 s[sgprSrdA+3], Srd127_96                 // Set bits 127_96 in SRD


/* global read addresses: addresses b */

/* max read offset = size[n] * stride[n-1] */
s_mul_hi_u32 s61, s[sgprWorkGroup1], 144           // WorkGroup[01] * MT
s_mul_i32 s60, s[sgprWorkGroup1], 144              // WorkGroup[01] * MT
s_sub_u32 s[sgprShadowLimitB+0], s[sgprTensor2dSizeB], s60 // sub tileStart
s_subb_u32 s[sgprShadowLimitB+1], s[sgprTensor2dSizeB+1], s61 // sub tileStart
s_lshl_b64 s[sgprShadowLimitB:sgprShadowLimitB+1], s[sgprShadowLimitB:sgprShadowLimitB+1], 0x1 // Set limit to use bytes
s_add_u32 s[sgprShadowLimitB+0], s[sgprShadowLimitB+0], 4 // extend limit for pre-pad
s_addc_u32 s[sgprShadowLimitB+1], s[sgprShadowLimitB+1], 0 // extend limit for pre-pad
s_cmp_eq_u32 s[sgprShadowLimitB+1], 0              // are we within 2^32?
s_cselect_b32 s[sgprSrdB+2], s[sgprShadowLimitB+0], BufferLimitB // Move shadow to real if we are within 2^32
s_mul_hi_u32 s59, s[sgprStrideBK], s[sgprWorkGroup2] // Stride*WG
s_mul_i32 s58, s[sgprStrideBK], s[sgprWorkGroup2]  // Stride*WG
s_add_u32 s60, s60, s58                            // accum wg term to tilestart
s_addc_u32 s61, s61, s59                           // accum wg term to tilestart
s_lshl_b64 s[60:61], s[60:61], 0x1                 // tileStart *= BPE
s_add_u32 s[sgprSrdB+0], s[sgprSrdB+0], s60        // SRD base = Address+ tileStart0
s_addc_u32 s[sgprSrdB+1], s[sgprSrdB+1], s61       // SRD base = Address+ tileStart1
s_mov_b32 s[sgprSrdB+3], Srd127_96                 // Set bits 127_96 in SRD


/* global read addresses: increments a */

s_mul_i32 s[sgprGlobalReadIncsA+0], DepthU*BpeA, s[sgprStrideAL] // incrA unrollIdx)


/* global read addresses: increments b */

s_mul_i32 s[sgprGlobalReadIncsB+0], DepthU*BpeB, s[sgprStrideBL] // incrB unrollIdx)

/* declare loop num iterations */


s_lshr_b32 s[sgprLoopCounterL], s[sgprSizesSum+0], 5 // s[sgprLoopCounterL] = s[sgprSizesSum+0] / 32
s_mov_b32 s[sgprOrigLoopCounter], s[sgprLoopCounterL] // copy loop counter

s_and_b32 s[sgprStaggerUIter], s[sgprOrigStaggerUIter], s[sgprWorkGroup0] // Compute actual stagger start for this tile
s_lshl_b32 s[sgprStaggerUIter], s[sgprStaggerUIter], 2 // shift by StaggerUStride


/* SRDs += (StaggerUIter) * GlobalReadIncsA+0 */
s_mul_hi_u32 s59, s[sgprStaggerUIter], s[sgprGlobalReadIncsA+0] //  stagger byte offset
s_mul_i32 s58, s[sgprStaggerUIter], s[sgprGlobalReadIncsA+0] //  stagger byte offset
s_mul_hi_u32 s[sgprWrapUA+1], s[sgprLoopCounterL], s[sgprGlobalReadIncsA+0] // Number of bytes accessed by the unroll loop
s_mul_i32 s[sgprWrapUA+0], s[sgprLoopCounterL], s[sgprGlobalReadIncsA+0] // Number of bytes accessed by the unroll loop
s_sub_u32 s[sgprWrapUA+0], s[sgprGlobalReadIncsA+0], s[sgprWrapUA+0] // remove one iteration
s_subb_u32 s[sgprWrapUA+1], 0, s[sgprWrapUA+1]     // remove one iteration
s_add_u32 s[sgprSrdA+0], s[sgprSrdA+0], s58        // gra SRD += inc(lower)
s_addc_u32  s[sgprSrdA+1], s[sgprSrdA+1], s59      // gra SRD += inc(upper)
s_sub_u32 s[sgprShadowLimitA+0], s[sgprShadowLimitA+0], s58 // limit -= inc)
s_subb_u32 s[sgprShadowLimitA+1], s[sgprShadowLimitA+1], s59 // limit -= inc)
s_cmp_eq_u32 s[sgprShadowLimitA+1], 0              // are we within 2^32?
s_cselect_b32 s[sgprSrdA+2], s[sgprShadowLimitA+0], BufferLimitA // Move shadow to real if we are within 2^32


/* SRDs += (StaggerUIter) * GlobalReadIncsB+0 */
s_mul_hi_u32 s59, s[sgprStaggerUIter], s[sgprGlobalReadIncsB+0] //  stagger byte offset
s_mul_i32 s58, s[sgprStaggerUIter], s[sgprGlobalReadIncsB+0] //  stagger byte offset
s_mul_hi_u32 s[sgprWrapUB+1], s[sgprLoopCounterL], s[sgprGlobalReadIncsB+0] // Number of bytes accessed by the unroll loop
s_mul_i32 s[sgprWrapUB+0], s[sgprLoopCounterL], s[sgprGlobalReadIncsB+0] // Number of bytes accessed by the unroll loop
s_sub_u32 s[sgprWrapUB+0], s[sgprGlobalReadIncsB+0], s[sgprWrapUB+0] // remove one iteration
s_subb_u32 s[sgprWrapUB+1], 0, s[sgprWrapUB+1]     // remove one iteration
s_add_u32 s[sgprSrdB+0], s[sgprSrdB+0], s58        // gra SRD += inc(lower)
s_addc_u32  s[sgprSrdB+1], s[sgprSrdB+1], s59      // gra SRD += inc(upper)
s_sub_u32 s[sgprShadowLimitB+0], s[sgprShadowLimitB+0], s58 // limit -= inc)
s_subb_u32 s[sgprShadowLimitB+1], s[sgprShadowLimitB+1], s59 // limit -= inc)
s_cmp_eq_u32 s[sgprShadowLimitB+1], 0              // are we within 2^32?
s_cselect_b32 s[sgprSrdB+2], s[sgprShadowLimitB+0], BufferLimitB // Move shadow to real if we are within 2^32
s_add_u32 s[sgprStaggerUIter], s[sgprStaggerUIter], 2 // Subtract (PGR-1); StaggerUIter now contains target iteration to wrap

/* local read addresses: init pointers a */


/* localReadInitPointers */

/* local read addresses: init pointers b */


/* localReadInitPointers */


/* prefetch: global -> local */

s_cmp_eq_u32 s[sgprLoopCounterL], 0                // at last iteration?
s_cbranch_scc1 ShadowInitStart_10                  // skip to ShadowInitStart iter b/c numIter==0


_buffer_load_b32 v[vgprG2LA+0], v[vgprGlobalReadOffsetA+0], s[sgprSrdA:sgprSrdA+3], 0, offen offset:0 // G -> Reg 0_0_0_0
_buffer_load_b32 v[vgprG2LA+1], v[vgprGlobalReadOffsetA+1], s[sgprSrdA:sgprSrdA+3], 0, offen offset:0 // G -> Reg 0_0_1_0
_buffer_load_b32 v[vgprG2LA+2], v[vgprGlobalReadOffsetA+2], s[sgprSrdA:sgprSrdA+3], 0, offen offset:0 // G -> Reg 0_0_2_0
_buffer_load_b32 v[vgprG2LA+3], v[vgprGlobalReadOffsetA+3], s[sgprSrdA:sgprSrdA+3], 0, offen offset:0 // G -> Reg 0_0_3_0


_buffer_load_b32 v[vgprG2LB+0], v[vgprGlobalReadOffsetB+0], s[sgprSrdB:sgprSrdB+3], 0, offen offset:0 // G -> Reg 0_0_0_0
_buffer_load_b32 v[vgprG2LB+1], v[vgprGlobalReadOffsetB+1], s[sgprSrdB:sgprSrdB+3], 0, offen offset:0 // G -> Reg 1_0_0_0
_buffer_load_b32 v[vgprG2LB+2], v[vgprGlobalReadOffsetB+2], s[sgprSrdB:sgprSrdB+3], 0, offen offset:0 // G -> Reg 2_0_0_0
_buffer_load_b32 v[vgprG2LB+3], v[vgprGlobalReadOffsetB+3], s[sgprSrdB:sgprSrdB+3], 0, offen offset:0 // G -> Reg 3_0_0_0
_buffer_load_b32 v[vgprG2LB+4], v[vgprGlobalReadOffsetB+4], s[sgprSrdB:sgprSrdB+3], 0, offen offset:0 // G -> Reg 4_0_0_0
_buffer_load_b32 v[vgprG2LB+5], v[vgprGlobalReadOffsetB+5], s[sgprSrdB:sgprSrdB+3], 0, offen offset:0 // G -> Reg 5_0_0_0
_buffer_load_b32 v[vgprG2LB+6], v[vgprGlobalReadOffsetB+6], s[sgprSrdB:sgprSrdB+3], 0, offen offset:0 // G -> Reg 6_0_0_0
_buffer_load_b32 v[vgprG2LB+7], v[vgprGlobalReadOffsetB+7], s[sgprSrdB:sgprSrdB+3], 0, offen offset:0 // G -> Reg 7_0_0_0
_buffer_load_b32 v[vgprG2LB+8], v[vgprGlobalReadOffsetB+8], s[sgprSrdB:sgprSrdB+3], 0, offen offset:0 // G -> Reg 8_0_0_0


/* global read inc A loopL */
s_add_u32 s60, s[sgprLoopCounterL], 1              // remove pf(1)
s_cmp_eq_u32 s[sgprStaggerUIter], s60              // Is this wrapIter? (pf)
s_cselect_b32 s58, s[sgprWrapUA+0], s[sgprGlobalReadIncsA+0] // incLower <- ?
s_cselect_b32 s59, s[sgprWrapUA+1], 0              // incUpper <- ?
s_add_u32 s[sgprSrdA+0], s[sgprSrdA+0], s58        // gra SRD += inc(lower)
s_addc_u32  s[sgprSrdA+1], s[sgprSrdA+1], s59      // gra SRD += inc(upper)
s_sub_u32 s[sgprShadowLimitA+0], s[sgprShadowLimitA+0], s58 // limit -= inc)
s_subb_u32 s[sgprShadowLimitA+1], s[sgprShadowLimitA+1], s59 // limit -= inc)
s_cmp_eq_u32 s[sgprShadowLimitA+1], 0              // are we within 2^32?
s_cselect_b32 s[sgprSrdA+2], s[sgprShadowLimitA+0], BufferLimitA // Move shadow to real if we are within 2^32

/* global read inc B loopL */
s_add_u32 s60, s[sgprLoopCounterL], 1              // remove pf(1)
s_cmp_eq_u32 s[sgprStaggerUIter], s60              // Is this wrapIter? (pf)
s_cselect_b32 s58, s[sgprWrapUB+0], s[sgprGlobalReadIncsB+0] // incLower <- ?
s_cselect_b32 s59, s[sgprWrapUB+1], 0              // incUpper <- ?
s_add_u32 s[sgprSrdB+0], s[sgprSrdB+0], s58        // gra SRD += inc(lower)
s_addc_u32  s[sgprSrdB+1], s[sgprSrdB+1], s59      // gra SRD += inc(upper)
s_sub_u32 s[sgprShadowLimitB+0], s[sgprShadowLimitB+0], s58 // limit -= inc)
s_subb_u32 s[sgprShadowLimitB+1], s[sgprShadowLimitB+1], s59 // limit -= inc)
s_cmp_eq_u32 s[sgprShadowLimitB+1], 0              // are we within 2^32?
s_cselect_b32 s[sgprSrdB+2], s[sgprShadowLimitB+0], BufferLimitB // Move shadow to real if we are within 2^32


/******************************************/
/* End setupNewTile, isPap=False             */
/******************************************/

ShadowInitStart_10: // 

s_mov_b32 s[sgprSrdD+2], BufferOOB                 // 
s_mov_b32 s[sgprSrdD+3], Srd127_96                 // Set bits 127_96 in post-loop SRD

s_mov_b32 s[sgprSrdC+2], BufferOOB                 // 
s_mov_b32 s[sgprSrdC+3], Srd127_96                 // Set bits 127_96 in post-loop SRD


s_mul_i32 s58, MT1, s[sgprWorkGroup1]              // <- wg1*MT1
s_mul_hi_u32 s57, s58, s[sgprStrideC1J]            // CScale s58 by Stride
s_mul_i32 s56, s58, s[sgprStrideC1J]               // CScale s58 by Stride
s_lshl_b64 s[56:57], s[56:57], 1                   // scale by bpe
s_add_u32 s[sgprSrdC+0], s[sgprSrdC+0], s56        // add lo to SRD
s_addc_u32 s[sgprSrdC+1], s[sgprSrdC+1], s57       // add hi to SRD
s_mul_hi_u32 s57, s58, s[sgprStrideD1J]            // Scale s58 by Stride
s_mul_i32 s56, s58, s[sgprStrideD1J]               // Scale s58 by Stride
s_lshl_b64 s[56:57], s[56:57], 1                   // scale by bpe
s_add_u32 s[sgprSrdD+0], s[sgprSrdD+0], s56        // add lo to SRD
s_addc_u32 s[sgprSrdD+1], s[sgprSrdD+1], s57       // add hi to SRD

s_mul_hi_u32 s57, s[sgprWorkGroup2], s[sgprStrideCK] // CScale s[sgprWorkGroup2] by Stride
s_mul_i32 s56, s[sgprWorkGroup2], s[sgprStrideCK]  // CScale s[sgprWorkGroup2] by Stride
s_lshl_b64 s[56:57], s[56:57], 1                   // scale by bpe
s_add_u32 s[sgprSrdC+0], s[sgprSrdC+0], s56        // add lo to SRD
s_addc_u32 s[sgprSrdC+1], s[sgprSrdC+1], s57       // add hi to SRD
s_mul_hi_u32 s57, s[sgprWorkGroup2], s[sgprStrideDK] // Scale s[sgprWorkGroup2] by Stride
s_mul_i32 s56, s[sgprWorkGroup2], s[sgprStrideDK]  // Scale s[sgprWorkGroup2] by Stride
s_lshl_b64 s[56:57], s[56:57], 1                   // scale by bpe
s_add_u32 s[sgprSrdD+0], s[sgprSrdD+0], s56        // add lo to SRD
s_addc_u32 s[sgprSrdD+1], s[sgprSrdD+1], s57       // add hi to SRD


	;; [unrolled: 1-line block ×3, first 2 shown]
/* initC: remove C-tile 0-0 from pool */

/* initC: remove AB-tile 0-40 from pool */
v_accvgpr_write acc0, 0x0                          // initC
v_accvgpr_write acc1, 0x0                          // initC
v_accvgpr_write acc2, 0x0                          // initC
v_accvgpr_write acc3, 0x0                          // initC
v_accvgpr_write acc4, 0x0                          // initC
v_accvgpr_write acc5, 0x0                          // initC
v_accvgpr_write acc6, 0x0                          // initC
v_accvgpr_write acc7, 0x0                          // initC
v_accvgpr_write acc8, 0x0                          // initC
v_accvgpr_write acc9, 0x0                          // initC
v_accvgpr_write acc10, 0x0                         // initC
v_accvgpr_write acc11, 0x0                         // initC
v_accvgpr_write acc12, 0x0                         // initC
v_accvgpr_write acc13, 0x0                         // initC
v_accvgpr_write acc14, 0x0                         // initC
v_accvgpr_write acc15, 0x0                         // initC
v_accvgpr_write acc16, 0x0                         // initC
v_accvgpr_write acc17, 0x0                         // initC
v_accvgpr_write acc18, 0x0                         // initC
v_accvgpr_write acc19, 0x0                         // initC
v_accvgpr_write acc20, 0x0                         // initC
v_accvgpr_write acc21, 0x0                         // initC
v_accvgpr_write acc22, 0x0                         // initC
v_accvgpr_write acc23, 0x0                         // initC
v_accvgpr_write acc24, 0x0                         // initC
v_accvgpr_write acc25, 0x0                         // initC
v_accvgpr_write acc26, 0x0                         // initC
v_accvgpr_write acc27, 0x0                         // initC
v_accvgpr_write acc28, 0x0                         // initC
v_accvgpr_write acc29, 0x0                         // initC
v_accvgpr_write acc30, 0x0                         // initC
v_accvgpr_write acc31, 0x0                         // initC
v_accvgpr_write acc32, 0x0                         // initC
v_accvgpr_write acc33, 0x0                         // initC
v_accvgpr_write acc34, 0x0                         // initC
v_accvgpr_write acc35, 0x0                         // initC

s_cmp_eq_u32 s[sgprLoopCounterL], 0                // at last iteration?

/* after InitC, skip to end of prefetch last iter if numIter==0 */
s_cbranch_scc0 label_NoBranch_11                   // Only branch on scc1
s_getpc_B64 s[56:57]                               // addr of next instr
s_add_i32 s58, PrefetchGlobalLastIterEnd_5, 0x4    // target branch offset
s_add_u32 s56, s56, s58                            // add target branch offset
s_addc_u32 s57, s57, 0                             // add high and carry
s_setpc_b64 s[56:57]                               // branch to PrefetchGlobalLastIterEnd_5
label_NoBranch_11:

s_waitcnt vmcnt(0)                                 // lgkmcnt=-1 vmcnt=0 8wait for global read


/* local write a */
_ds_store_b32 v[vgprLocalWriteAddrA], v[vgprG2LA+0] offset:0 // lwoA_0_0_0_0 = (0*LSCA) + (0*LSPA)(*MT0I+PAD) = 0
_ds_store_b32 v[vgprLocalWriteAddrA], v[vgprG2LA+1] offset:256 // lwoA_0_0_1_0 = (0*LSCA) + (1*LSPA)(*MT0I+PAD) = 256
_ds_store_b32 v[vgprLocalWriteAddrA], v[vgprG2LA+2] offset:512 // lwoA_0_0_2_0 = (0*LSCA) + (2*LSPA)(*MT0I+PAD) = 512
_ds_store_b32 v[vgprLocalWriteAddrA], v[vgprG2LA+3] offset:768 // lwoA_0_0_3_0 = (0*LSCA) + (3*LSPA)(*MT0I+PAD) = 768

/* local write b */
_ds_store_b32 v[vgprLocalWriteAddrB], v[vgprG2LB+0] offset:0 // lwoB_0_0_0_0 = (0*LSCB) + (0*LSPB)(*MT1J+PAD) = 0
_ds_store_b32 v[vgprLocalWriteAddrB], v[vgprG2LB+1] offset:32 // lwoB_1_0_0_0 = (1*LSCB) + (0*LSPB)(*MT1J+PAD) = 32
_ds_store_b32 v[vgprLocalWriteAddrB], v[vgprG2LB+2] offset:64 // lwoB_2_0_0_0 = (2*LSCB) + (0*LSPB)(*MT1J+PAD) = 64
_ds_store_b32 v[vgprLocalWriteAddrB], v[vgprG2LB+3] offset:96 // lwoB_3_0_0_0 = (3*LSCB) + (0*LSPB)(*MT1J+PAD) = 96
_ds_store_b32 v[vgprLocalWriteAddrB], v[vgprG2LB+4] offset:128 // lwoB_4_0_0_0 = (4*LSCB) + (0*LSPB)(*MT1J+PAD) = 128
_ds_store_b32 v[vgprLocalWriteAddrB], v[vgprG2LB+5] offset:160 // lwoB_5_0_0_0 = (5*LSCB) + (0*LSPB)(*MT1J+PAD) = 160
_ds_store_b32 v[vgprLocalWriteAddrB], v[vgprG2LB+6] offset:192 // lwoB_6_0_0_0 = (6*LSCB) + (0*LSPB)(*MT1J+PAD) = 192
_ds_store_b32 v[vgprLocalWriteAddrB], v[vgprG2LB+7] offset:224 // lwoB_7_0_0_0 = (7*LSCB) + (0*LSPB)(*MT1J+PAD) = 224
_ds_store_b32 v[vgprLocalWriteAddrB], v[vgprG2LB+8] offset:256 // lwoB_8_0_0_0 = (8*LSCB) + (0*LSPB)(*MT1J+PAD) = 256


/* local write swap a */


/* (EPS=1) local write swap internal offset -> 16384 */


/* local write swap b */


/* (EPS=1) local write swap internal offset -> 16384 */


	;; [unrolled: 1-line block ×5, first 2 shown]
/******************************************/
/* Unrolled Loop(s) - Begin               */
/******************************************/

openLoopL_12:
s_cmp_le_u32 s[sgprLoopCounterL], 0x1              // LoopCounterL < EndCounter
s_cbranch_scc1 LoopEndL_2                          // do not enter LoopL
LoopBeginL_1:


/******************************************/
/* Unrolled Loop 1/2 - Begin              */
/******************************************/

label_0013: // LoopCopy1 

s_waitcnt lgkmcnt(0)                               // lgkmcnt=0 vmcnt=-11wait for local write

s_waitcnt lgkmcnt(0) & vmcnt(0)                    // force waitcnt0
s_barrier //4sync for global read


/* Begin Each Unroll: Check VGPR.checkin for INT8 LW */


	;; [unrolled: 1-line block ×3, first 2 shown]
/* iter 0 */

/*  grEndMfmaIndex:12, lwStartMfmaIndex:12, lwEndMfmaIndex:17  */
/*  numMfmaForLR:8, barrierMfmaIndex:0 */
/*  mfmaIndex:0  */
_ds_load_u16 v[vgprValuA_X0_I0+0], v[vgprLocalReadAddrA] offset:0 // L -> Reg lro=0 swapByteOffset=0 ti=64 vIdx=0 rIdx=0 oIdx=0 buffer=0 iui=0
_ds_load_u16_d16_hi v72, v[vgprLocalReadAddrA] offset:128 // L -> Reg lro=0 swapByteOffset=0 ti=64 vIdx=0 rIdx=1 oIdx=0 buffer=0 iui=0
_ds_load_u16 v[vgprValuA_X0_I0+1], v[vgprLocalReadAddrA] offset:256 // L -> Reg lro=0 swapByteOffset=0 ti=64 vIdx=0 rIdx=2 oIdx=0 buffer=0 iui=0
_ds_load_u16_d16_hi v73, v[vgprLocalReadAddrA] offset:384 // L -> Reg lro=0 swapByteOffset=0 ti=64 vIdx=0 rIdx=3 oIdx=0 buffer=0 iui=0
_ds_load_u16 v[vgprValuB_X0_I0+0], v[vgprLocalReadAddrB] offset:0 // L -> Reg lro=0 swapByteOffset=0 ti=16 vIdx=0 rIdx=0 oIdx=0 buffer=0 iui=0
_ds_load_u16_d16_hi v74, v[vgprLocalReadAddrB] offset:288 // L -> Reg lro=0 swapByteOffset=0 ti=16 vIdx=0 rIdx=1 oIdx=0 buffer=0 iui=0
_ds_load_u16 v[vgprValuB_X0_I0+1], v[vgprLocalReadAddrB] offset:576 // L -> Reg lro=0 swapByteOffset=0 ti=16 vIdx=0 rIdx=2 oIdx=0 buffer=0 iui=0
_ds_load_u16_d16_hi v75, v[vgprLocalReadAddrB] offset:864 // L -> Reg lro=0 swapByteOffset=0 ti=16 vIdx=0 rIdx=3 oIdx=0 buffer=0 iui=0
	;; [unrolled: 2-line block ×18, first 2 shown]
_buffer_load_b32 v[vgprG2LA+0], v[vgprGlobalReadOffsetA+0], s[sgprSrdA:sgprSrdA+3], 0, offen offset:0 // G -> Reg 0_0_0_0
s_waitcnt lgkmcnt(0)                               // lgkmcnt=0 vmcnt=-1wait for prior local read local write old=0, new=0 newLW=0 newLR=0
/* pack scheduling: packAIdx:2, packBIdx:2 */
v_or_b32 v[vgprValuA_X0_I0+0], v[vgprValuA_X0_I0+0], v72 // pack two half Vgpr to one Vgpr
v_or_b32 v[vgprValuA_X0_I0+1], v[vgprValuA_X0_I0+1], v73 // pack two half Vgpr to one Vgpr
v_or_b32 v[vgprValuB_X0_I0+0], v[vgprValuB_X0_I0+0], v74 // pack two half Vgpr to one Vgpr
v_or_b32 v[vgprValuB_X0_I0+1], v[vgprValuB_X0_I0+1], v75 // pack two half Vgpr to one Vgpr
	;; [unrolled: 1-line block ×4, first 2 shown]
v_mfma_f32_16x16x16f16 a[0+0:3+0], v[vgprValuA_X0_I0+0+0+0:vgprValuA_X0_I0+0+0+0+1], v[vgprValuB_X0_I0+0+0+0:vgprValuB_X0_I0+0+0+0+1], a[0:3]
/*  mfmaIndex:1  */
/* localReadsVacancy: latencyLeft 5 */
_ds_load_u16 v[vgprValuA_X1_I0+0], v[vgprLocalReadAddrA] offset:2048 // L -> Reg lro=1024 swapByteOffset=0 ti=64 vIdx=0 rIdx=0 oIdx=0 buffer=1 iui=0
_ds_load_u16 v[vgprValuA_X1_I0+1], v[vgprLocalReadAddrA] offset:2304 // L -> Reg lro=1024 swapByteOffset=0 ti=64 vIdx=0 rIdx=2 oIdx=0 buffer=1 iui=0
_buffer_load_b32 v[vgprG2LA+1], v[vgprGlobalReadOffsetA+1], s[sgprSrdA:sgprSrdA+3], 0, offen offset:0 // G -> Reg 0_0_1_0
/* pack scheduling: packAIdx:2, packBIdx:4 */
v_or_b32 v[vgprValuB_X0_I0+4], v[vgprValuB_X0_I0+4], v78 // pack two half Vgpr to one Vgpr
v_or_b32 v[vgprValuB_X0_I0+5], v[vgprValuB_X0_I0+5], v79 // pack two half Vgpr to one Vgpr
	;; [unrolled: 1-line block ×4, first 2 shown]
v_mfma_f32_16x16x16f16 a[4+0:7+0], v[vgprValuA_X0_I0+0+0+0:vgprValuA_X0_I0+0+0+0+1], v[vgprValuB_X0_I0+2+0+0:vgprValuB_X0_I0+2+0+0+1], a[4:7]
/*  mfmaIndex:2  */
/* localReadsVacancy: latencyLeft 5 */
_ds_load_u16 v[vgprValuB_X1_I0+0], v[vgprLocalReadAddrB] offset:4608 // L -> Reg lro=2304 swapByteOffset=0 ti=16 vIdx=0 rIdx=0 oIdx=0 buffer=1 iui=0
_ds_load_u16 v[vgprValuB_X1_I0+1], v[vgprLocalReadAddrB] offset:5184 // L -> Reg lro=2304 swapByteOffset=0 ti=16 vIdx=0 rIdx=2 oIdx=0 buffer=1 iui=0
_buffer_load_b32 v[vgprG2LA+2], v[vgprGlobalReadOffsetA+2], s[sgprSrdA:sgprSrdA+3], 0, offen offset:0 // G -> Reg 0_0_2_0
/* pack scheduling: packAIdx:2, packBIdx:6 */
v_or_b32 v[vgprValuB_X0_I0+8], v[vgprValuB_X0_I0+8], v82 // pack two half Vgpr to one Vgpr
v_or_b32 v[vgprValuB_X0_I0+9], v[vgprValuB_X0_I0+9], v83 // pack two half Vgpr to one Vgpr
	;; [unrolled: 1-line block ×4, first 2 shown]
v_mfma_f32_16x16x16f16 a[8+0:11+0], v[vgprValuA_X0_I0+0+0+0:vgprValuA_X0_I0+0+0+0+1], v[vgprValuB_X0_I0+4+0+0:vgprValuB_X0_I0+4+0+0+1], a[8:11]
/*  mfmaIndex:3  */
/* localReadsVacancy: latencyLeft 5 */
_ds_load_u16 v[vgprValuB_X1_I0+2], v[vgprLocalReadAddrB] offset:4640 // L -> Reg lro=2304 swapByteOffset=0 ti=16 vIdx=1 rIdx=0 oIdx=0 buffer=1 iui=0
_ds_load_u16 v[vgprValuB_X1_I0+3], v[vgprLocalReadAddrB] offset:5216 // L -> Reg lro=2304 swapByteOffset=0 ti=16 vIdx=1 rIdx=2 oIdx=0 buffer=1 iui=0
_buffer_load_b32 v[vgprG2LA+3], v[vgprGlobalReadOffsetA+3], s[sgprSrdA:sgprSrdA+3], 0, offen offset:0 // G -> Reg 0_0_3_0
/* pack scheduling: packAIdx:2, packBIdx:8 */
v_or_b32 v[vgprValuB_X0_I0+12], v[vgprValuB_X0_I0+12], v86 // pack two half Vgpr to one Vgpr
v_or_b32 v[vgprValuB_X0_I0+13], v[vgprValuB_X0_I0+13], v87 // pack two half Vgpr to one Vgpr
	;; [unrolled: 1-line block ×4, first 2 shown]
v_mfma_f32_16x16x16f16 a[12+0:15+0], v[vgprValuA_X0_I0+0+0+0:vgprValuA_X0_I0+0+0+0+1], v[vgprValuB_X0_I0+6+0+0:vgprValuB_X0_I0+6+0+0+1], a[12:15]
/*  mfmaIndex:4  */
/* localReadsVacancy: latencyLeft 5 */
_ds_load_u16 v[vgprValuB_X1_I0+4], v[vgprLocalReadAddrB] offset:4672 // L -> Reg lro=2304 swapByteOffset=0 ti=16 vIdx=2 rIdx=0 oIdx=0 buffer=1 iui=0
_ds_load_u16 v[vgprValuB_X1_I0+5], v[vgprLocalReadAddrB] offset:5248 // L -> Reg lro=2304 swapByteOffset=0 ti=16 vIdx=2 rIdx=2 oIdx=0 buffer=1 iui=0
_buffer_load_b32 v[vgprG2LB+0], v[vgprGlobalReadOffsetB+0], s[sgprSrdB:sgprSrdB+3], 0, offen offset:0 // G -> Reg 0_0_0_0
/* pack scheduling: packAIdx:2, packBIdx:10 */
v_or_b32 v[vgprValuB_X0_I0+16], v[vgprValuB_X0_I0+16], v90 // pack two half Vgpr to one Vgpr
v_or_b32 v[vgprValuB_X0_I0+17], v[vgprValuB_X0_I0+17], v91 // pack two half Vgpr to one Vgpr
v_mfma_f32_16x16x16f16 a[16+0:19+0], v[vgprValuA_X0_I0+0+0+0:vgprValuA_X0_I0+0+0+0+1], v[vgprValuB_X0_I0+8+0+0:vgprValuB_X0_I0+8+0+0+1], a[16:19]
/*  mfmaIndex:5  */
/* localReadsVacancy: latencyLeft 5 */
_ds_load_u16 v[vgprValuB_X1_I0+6], v[vgprLocalReadAddrB] offset:4704 // L -> Reg lro=2304 swapByteOffset=0 ti=16 vIdx=3 rIdx=0 oIdx=0 buffer=1 iui=0
_ds_load_u16 v[vgprValuB_X1_I0+7], v[vgprLocalReadAddrB] offset:5280 // L -> Reg lro=2304 swapByteOffset=0 ti=16 vIdx=3 rIdx=2 oIdx=0 buffer=1 iui=0
_buffer_load_b32 v[vgprG2LB+1], v[vgprGlobalReadOffsetB+1], s[sgprSrdB:sgprSrdB+3], 0, offen offset:0 // G -> Reg 1_0_0_0
v_mfma_f32_16x16x16f16 a[20+0:23+0], v[vgprValuA_X0_I0+0+0+0:vgprValuA_X0_I0+0+0+0+1], v[vgprValuB_X0_I0+10+0+0:vgprValuB_X0_I0+10+0+0+1], a[20:23]
/*  mfmaIndex:6  */
/* localReadsVacancy: latencyLeft 5 */
_ds_load_u16 v[vgprValuB_X1_I0+8], v[vgprLocalReadAddrB] offset:4736 // L -> Reg lro=2304 swapByteOffset=0 ti=16 vIdx=4 rIdx=0 oIdx=0 buffer=1 iui=0
_ds_load_u16 v[vgprValuB_X1_I0+9], v[vgprLocalReadAddrB] offset:5312 // L -> Reg lro=2304 swapByteOffset=0 ti=16 vIdx=4 rIdx=2 oIdx=0 buffer=1 iui=0
_buffer_load_b32 v[vgprG2LB+2], v[vgprGlobalReadOffsetB+2], s[sgprSrdB:sgprSrdB+3], 0, offen offset:0 // G -> Reg 2_0_0_0
v_mfma_f32_16x16x16f16 a[24+0:27+0], v[vgprValuA_X0_I0+0+0+0:vgprValuA_X0_I0+0+0+0+1], v[vgprValuB_X0_I0+12+0+0:vgprValuB_X0_I0+12+0+0+1], a[24:27]
/*  mfmaIndex:7  */
/* localReadsVacancy: latencyLeft 5 */
_ds_load_u16 v[vgprValuB_X1_I0+10], v[vgprLocalReadAddrB] offset:4768 // L -> Reg lro=2304 swapByteOffset=0 ti=16 vIdx=5 rIdx=0 oIdx=0 buffer=1 iui=0
_ds_load_u16 v[vgprValuB_X1_I0+11], v[vgprLocalReadAddrB] offset:5344 // L -> Reg lro=2304 swapByteOffset=0 ti=16 vIdx=5 rIdx=2 oIdx=0 buffer=1 iui=0
_buffer_load_b32 v[vgprG2LB+3], v[vgprGlobalReadOffsetB+3], s[sgprSrdB:sgprSrdB+3], 0, offen offset:0 // G -> Reg 3_0_0_0
v_mfma_f32_16x16x16f16 a[28+0:31+0], v[vgprValuA_X0_I0+0+0+0:vgprValuA_X0_I0+0+0+0+1], v[vgprValuB_X0_I0+14+0+0:vgprValuB_X0_I0+14+0+0+1], a[28:31]
/*  mfmaIndex:8  */
/* localReadsVacancy: latencyLeft 5 */
_ds_load_u16 v[vgprValuB_X1_I0+12], v[vgprLocalReadAddrB] offset:4800 // L -> Reg lro=2304 swapByteOffset=0 ti=16 vIdx=6 rIdx=0 oIdx=0 buffer=1 iui=0
_ds_load_u16 v[vgprValuB_X1_I0+13], v[vgprLocalReadAddrB] offset:5376 // L -> Reg lro=2304 swapByteOffset=0 ti=16 vIdx=6 rIdx=2 oIdx=0 buffer=1 iui=0
_buffer_load_b32 v[vgprG2LB+4], v[vgprGlobalReadOffsetB+4], s[sgprSrdB:sgprSrdB+3], 0, offen offset:0 // G -> Reg 4_0_0_0
_buffer_load_b32 v[vgprG2LB+5], v[vgprGlobalReadOffsetB+5], s[sgprSrdB:sgprSrdB+3], 0, offen offset:0 // G -> Reg 5_0_0_0
v_mfma_f32_16x16x16f16 a[32+0:35+0], v[vgprValuA_X0_I0+0+0+0:vgprValuA_X0_I0+0+0+0+1], v[vgprValuB_X0_I0+16+0+0:vgprValuB_X0_I0+16+0+0+1], a[32:35]
/* numPrefetchIter=0 */
/* dataAtIterA=0 numReadsIterA=1 skipReadsIterA=0 readsPerIterA=4 */
/* dataAtIterB=0 numReadsIterB=1 skipReadsIterB=0 readsPerIterB=36 */


/* iter 1 (reset local read pointers iteration)  (swap and reset local write pointers iteration)  (swap local read pointers iteration)  */

/*  grEndMfmaIndex:12, lwStartMfmaIndex:12, lwEndMfmaIndex:17  */
/*  numMfmaForLR:8, barrierMfmaIndex:0 */
/*  mfmaIndex:9  */
_ds_load_u16_d16_hi v72, v[vgprLocalReadAddrA] offset:2176 // L -> Reg lro=1024 swapByteOffset=0 ti=64 vIdx=0 rIdx=1 oIdx=0 buffer=1 iui=0
_ds_load_u16_d16_hi v73, v[vgprLocalReadAddrA] offset:2432 // L -> Reg lro=1024 swapByteOffset=0 ti=64 vIdx=0 rIdx=3 oIdx=0 buffer=1 iui=0
_ds_load_u16_d16_hi v74, v[vgprLocalReadAddrB] offset:4896 // L -> Reg lro=2304 swapByteOffset=0 ti=16 vIdx=0 rIdx=1 oIdx=0 buffer=1 iui=0
_ds_load_u16_d16_hi v75, v[vgprLocalReadAddrB] offset:5472 // L -> Reg lro=2304 swapByteOffset=0 ti=16 vIdx=0 rIdx=3 oIdx=0 buffer=1 iui=0
	;; [unrolled: 1-line block ×14, first 2 shown]
_ds_load_u16 v[vgprValuB_X1_I0+14], v[vgprLocalReadAddrB] offset:4832 // L -> Reg lro=2304 swapByteOffset=0 ti=16 vIdx=7 rIdx=0 oIdx=0 buffer=1 iui=0
_ds_load_u16_d16_hi v88, v[vgprLocalReadAddrB] offset:5120 // L -> Reg lro=2304 swapByteOffset=0 ti=16 vIdx=7 rIdx=1 oIdx=0 buffer=1 iui=0
_ds_load_u16 v[vgprValuB_X1_I0+15], v[vgprLocalReadAddrB] offset:5408 // L -> Reg lro=2304 swapByteOffset=0 ti=16 vIdx=7 rIdx=2 oIdx=0 buffer=1 iui=0
_ds_load_u16_d16_hi v89, v[vgprLocalReadAddrB] offset:5696 // L -> Reg lro=2304 swapByteOffset=0 ti=16 vIdx=7 rIdx=3 oIdx=0 buffer=1 iui=0
	;; [unrolled: 2-line block ×4, first 2 shown]
_buffer_load_b32 v[vgprG2LB+6], v[vgprGlobalReadOffsetB+6], s[sgprSrdB:sgprSrdB+3], 0, offen offset:0 // G -> Reg 6_0_0_0
s_waitcnt lgkmcnt(0)                               // lgkmcnt=0 vmcnt=-1wait for prior local read local write old=0, new=0 newLW=0 newLR=0
/* pack scheduling: packAIdx:2, packBIdx:2 */
v_or_b32 v[vgprValuA_X1_I0+0], v[vgprValuA_X1_I0+0], v72 // pack two half Vgpr to one Vgpr
v_or_b32 v[vgprValuA_X1_I0+1], v[vgprValuA_X1_I0+1], v73 // pack two half Vgpr to one Vgpr
v_or_b32 v[vgprValuB_X1_I0+0], v[vgprValuB_X1_I0+0], v74 // pack two half Vgpr to one Vgpr
v_or_b32 v[vgprValuB_X1_I0+1], v[vgprValuB_X1_I0+1], v75 // pack two half Vgpr to one Vgpr
	;; [unrolled: 1-line block ×4, first 2 shown]
v_mfma_f32_16x16x16f16 a[0+0:3+0], v[vgprValuA_X1_I0+0+0+0:vgprValuA_X1_I0+0+0+0+1], v[vgprValuB_X1_I0+0+0+0:vgprValuB_X1_I0+0+0+0+1], a[0:3]
/*  mfmaIndex:10  */
/* localReadsVacancy: latencyLeft 5 */
_buffer_load_b32 v[vgprG2LB+7], v[vgprGlobalReadOffsetB+7], s[sgprSrdB:sgprSrdB+3], 0, offen offset:0 // G -> Reg 7_0_0_0
/* pack scheduling: packAIdx:2, packBIdx:4 */
v_or_b32 v[vgprValuB_X1_I0+4], v[vgprValuB_X1_I0+4], v78 // pack two half Vgpr to one Vgpr
v_or_b32 v[vgprValuB_X1_I0+5], v[vgprValuB_X1_I0+5], v79 // pack two half Vgpr to one Vgpr
	;; [unrolled: 1-line block ×4, first 2 shown]
v_mfma_f32_16x16x16f16 a[4+0:7+0], v[vgprValuA_X1_I0+0+0+0:vgprValuA_X1_I0+0+0+0+1], v[vgprValuB_X1_I0+2+0+0:vgprValuB_X1_I0+2+0+0+1], a[4:7]
/*  mfmaIndex:11  */
/* localReadsVacancy: latencyLeft 5 */
_buffer_load_b32 v[vgprG2LB+8], v[vgprGlobalReadOffsetB+8], s[sgprSrdB:sgprSrdB+3], 0, offen offset:0 // G -> Reg 8_0_0_0
/* pack scheduling: packAIdx:2, packBIdx:6 */
v_or_b32 v[vgprValuB_X1_I0+8], v[vgprValuB_X1_I0+8], v82 // pack two half Vgpr to one Vgpr
v_or_b32 v[vgprValuB_X1_I0+9], v[vgprValuB_X1_I0+9], v83 // pack two half Vgpr to one Vgpr
	;; [unrolled: 1-line block ×4, first 2 shown]
v_mfma_f32_16x16x16f16 a[8+0:11+0], v[vgprValuA_X1_I0+0+0+0:vgprValuA_X1_I0+0+0+0+1], v[vgprValuB_X1_I0+4+0+0:vgprValuB_X1_I0+4+0+0+1], a[8:11]
/*  mfmaIndex:12  */
/* localReadsVacancy: latencyLeft 5 */

/* global read inc A loopL */
s_cmp_eq_u32 s[sgprLoopCounterL], s[sgprStaggerUIter] // Is this the wrapIter?
s_cselect_b32 s56, s[sgprWrapUA+0], s[sgprGlobalReadIncsA+0] // incLower <- ?
s_cselect_b32 s57, s[sgprWrapUA+1], 0              // incUpper <- ?
/* sched write - iter 1 writesPerItem=1 */
s_waitcnt vmcnt(0)                                 // lgkmcnt=-1 vmcnt=0wait for global read before writing to local
_ds_store_b32 v[vgprLocalWriteAddrA], v[vgprG2LA+0] offset:16384 // lwoA_0_0_0_0 = (0*LSCA) + (0*LSPA)(*MT0I+PAD) = 16384
/* pack scheduling: packAIdx:2, packBIdx:8 */
v_or_b32 v[vgprValuB_X1_I0+12], v[vgprValuB_X1_I0+12], v86 // pack two half Vgpr to one Vgpr
v_or_b32 v[vgprValuB_X1_I0+13], v[vgprValuB_X1_I0+13], v87 // pack two half Vgpr to one Vgpr
	;; [unrolled: 1-line block ×4, first 2 shown]
v_mfma_f32_16x16x16f16 a[12+0:15+0], v[vgprValuA_X1_I0+0+0+0:vgprValuA_X1_I0+0+0+0+1], v[vgprValuB_X1_I0+6+0+0:vgprValuB_X1_I0+6+0+0+1], a[12:15]
/*  mfmaIndex:13  */
/* localReadsVacancy: latencyLeft 5 */
s_add_u32 s[sgprSrdA+0], s[sgprSrdA+0], s56        // gra SRD += inc(lower)
s_addc_u32  s[sgprSrdA+1], s[sgprSrdA+1], s57      // gra SRD += inc(upper)
s_sub_u32 s[sgprShadowLimitA+0], s[sgprShadowLimitA+0], s56 // limit -= inc)
/* sched write - iter 1 writesPerItem=1 */
s_waitcnt vmcnt(0)                                 // lgkmcnt=-1 vmcnt=0wait for global read before writing to local
_ds_store_b32 v[vgprLocalWriteAddrA], v[vgprG2LA+1] offset:16640 // lwoA_0_0_1_0 = (0*LSCA) + (1*LSPA)(*MT0I+PAD) = 16640
/* pack scheduling: packAIdx:2, packBIdx:10 */
v_or_b32 v[vgprValuB_X1_I0+16], v[vgprValuB_X1_I0+16], v90 // pack two half Vgpr to one Vgpr
v_or_b32 v[vgprValuB_X1_I0+17], v[vgprValuB_X1_I0+17], v91 // pack two half Vgpr to one Vgpr
v_mfma_f32_16x16x16f16 a[16+0:19+0], v[vgprValuA_X1_I0+0+0+0:vgprValuA_X1_I0+0+0+0+1], v[vgprValuB_X1_I0+8+0+0:vgprValuB_X1_I0+8+0+0+1], a[16:19]
/*  mfmaIndex:14  */
/* localReadsVacancy: latencyLeft 5 */
s_subb_u32 s[sgprShadowLimitA+1], s[sgprShadowLimitA+1], s57 // limit -= inc)
s_cmp_eq_u32 s[sgprShadowLimitA+1], 0              // are we within 2^32?
s_cselect_b32 s[sgprSrdA+2], s[sgprShadowLimitA+0], BufferLimitA // Move shadow to real if we are within 2^32
/* sched write - iter 1 writesPerItem=1 */
s_waitcnt vmcnt(0)                                 // lgkmcnt=-1 vmcnt=0wait for global read before writing to local
_ds_store_b32 v[vgprLocalWriteAddrA], v[vgprG2LA+2] offset:16896 // lwoA_0_0_2_0 = (0*LSCA) + (2*LSPA)(*MT0I+PAD) = 16896
v_mfma_f32_16x16x16f16 a[20+0:23+0], v[vgprValuA_X1_I0+0+0+0:vgprValuA_X1_I0+0+0+0+1], v[vgprValuB_X1_I0+10+0+0:vgprValuB_X1_I0+10+0+0+1], a[20:23]
/*  mfmaIndex:15  */
/* localReadsVacancy: latencyLeft 5 */

/* global read inc B loopL */
s_cmp_eq_u32 s[sgprLoopCounterL], s[sgprStaggerUIter] // Is this the wrapIter?
s_cselect_b32 s56, s[sgprWrapUB+0], s[sgprGlobalReadIncsB+0] // incLower <- ?
s_cselect_b32 s57, s[sgprWrapUB+1], 0              // incUpper <- ?
/* sched write - iter 1 writesPerItem=1 */
s_waitcnt vmcnt(0)                                 // lgkmcnt=-1 vmcnt=0wait for global read before writing to local
_ds_store_b32 v[vgprLocalWriteAddrA], v[vgprG2LA+3] offset:17152 // lwoA_0_0_3_0 = (0*LSCA) + (3*LSPA)(*MT0I+PAD) = 17152
v_mfma_f32_16x16x16f16 a[24+0:27+0], v[vgprValuA_X1_I0+0+0+0:vgprValuA_X1_I0+0+0+0+1], v[vgprValuB_X1_I0+12+0+0:vgprValuB_X1_I0+12+0+0+1], a[24:27]
/*  mfmaIndex:16  */
/* localReadsVacancy: latencyLeft 5 */
s_add_u32 s[sgprSrdB+0], s[sgprSrdB+0], s56        // gra SRD += inc(lower)
s_addc_u32  s[sgprSrdB+1], s[sgprSrdB+1], s57      // gra SRD += inc(upper)
s_sub_u32 s[sgprShadowLimitB+0], s[sgprShadowLimitB+0], s56 // limit -= inc)
/* sched write - iter 1 writesPerItem=1 */
s_waitcnt vmcnt(0)                                 // lgkmcnt=-1 vmcnt=0wait for global read before writing to local
_ds_store_b32 v[vgprLocalWriteAddrB], v[vgprG2LB+0] offset:16384 // lwoB_0_0_0_0 = (0*LSCB) + (0*LSPB)(*MT1J+PAD) = 16384
v_mfma_f32_16x16x16f16 a[28+0:31+0], v[vgprValuA_X1_I0+0+0+0:vgprValuA_X1_I0+0+0+0+1], v[vgprValuB_X1_I0+14+0+0:vgprValuB_X1_I0+14+0+0+1], a[28:31]
/*  mfmaIndex:17  */
/* localReadsVacancy: latencyLeft 5 */
s_subb_u32 s[sgprShadowLimitB+1], s[sgprShadowLimitB+1], s57 // limit -= inc)
s_cmp_eq_u32 s[sgprShadowLimitB+1], 0              // are we within 2^32?
s_cselect_b32 s[sgprSrdB+2], s[sgprShadowLimitB+0], BufferLimitB // Move shadow to real if we are within 2^32
/* sched write - iter 1 writesPerItem=1 */
s_waitcnt vmcnt(0)                                 // lgkmcnt=-1 vmcnt=0wait for global read before writing to local
_ds_store_b32 v[vgprLocalWriteAddrB], v[vgprG2LB+1] offset:16416 // lwoB_1_0_0_0 = (1*LSCB) + (0*LSPB)(*MT1J+PAD) = 16416
/* sched write - iter 1 writesPerItem=1 */
s_waitcnt vmcnt(0)                                 // lgkmcnt=-1 vmcnt=0wait for global read before writing to local
_ds_store_b32 v[vgprLocalWriteAddrB], v[vgprG2LB+2] offset:16448 // lwoB_2_0_0_0 = (2*LSCB) + (0*LSPB)(*MT1J+PAD) = 16448
/* sched write - iter 1 writesPerItem=1 */
s_waitcnt vmcnt(0)                                 // lgkmcnt=-1 vmcnt=0wait for global read before writing to local
_ds_store_b32 v[vgprLocalWriteAddrB], v[vgprG2LB+3] offset:16480 // lwoB_3_0_0_0 = (3*LSCB) + (0*LSPB)(*MT1J+PAD) = 16480
/* sched write - iter 1 writesPerItem=1 */
s_waitcnt vmcnt(0)                                 // lgkmcnt=-1 vmcnt=0wait for global read before writing to local
_ds_store_b32 v[vgprLocalWriteAddrB], v[vgprG2LB+4] offset:16512 // lwoB_4_0_0_0 = (4*LSCB) + (0*LSPB)(*MT1J+PAD) = 16512
/* sched write - iter 1 writesPerItem=1 */
s_waitcnt vmcnt(0)                                 // lgkmcnt=-1 vmcnt=0wait for global read before writing to local
_ds_store_b32 v[vgprLocalWriteAddrB], v[vgprG2LB+5] offset:16544 // lwoB_5_0_0_0 = (5*LSCB) + (0*LSPB)(*MT1J+PAD) = 16544
/* sched write - iter 1 writesPerItem=1 */
s_waitcnt vmcnt(0)                                 // lgkmcnt=-1 vmcnt=0wait for global read before writing to local
_ds_store_b32 v[vgprLocalWriteAddrB], v[vgprG2LB+6] offset:16576 // lwoB_6_0_0_0 = (6*LSCB) + (0*LSPB)(*MT1J+PAD) = 16576
/* sched write - iter 1 writesPerItem=1 */
s_waitcnt vmcnt(0)                                 // lgkmcnt=-1 vmcnt=0wait for global read before writing to local
_ds_store_b32 v[vgprLocalWriteAddrB], v[vgprG2LB+7] offset:16608 // lwoB_7_0_0_0 = (7*LSCB) + (0*LSPB)(*MT1J+PAD) = 16608
/* sched write - iter 1 writesPerItem=1 */
s_waitcnt vmcnt(0)                                 // lgkmcnt=-1 vmcnt=0wait for global read before writing to local
_ds_store_b32 v[vgprLocalWriteAddrB], v[vgprG2LB+8] offset:16640 // lwoB_8_0_0_0 = (8*LSCB) + (0*LSPB)(*MT1J+PAD) = 16640

/* local write swap offsets a */

/* (EPS=1) local write swap internal offset -> 0 */

/* local write swap offsets b */

/* (EPS=1) local write swap internal offset -> 0 */

/* local read swap offsets a */

/* local read swap internal offset -> 16384 */

/* local read swap offsets b */

/* local read swap internal offset -> 16384 */

/* local read init pointers a */

/* localReadInitPointers */

/* local read init pointers b */

/* localReadInitPointers */
v_mfma_f32_16x16x16f16 a[32+0:35+0], v[vgprValuA_X1_I0+0+0+0:vgprValuA_X1_I0+0+0+0+1], v[vgprValuB_X1_I0+16+0+0:vgprValuB_X1_I0+16+0+0+1], a[32:35]
/* numPrefetchIter=0 */
/* dataAtIterA=1 numReadsIterA=2 skipReadsIterA=0 readsPerIterA=4 */
/* dataAtIterB=1 numReadsIterB=2 skipReadsIterB=0 readsPerIterB=36 */


/******************************************/
/* Unrolled Loop - End 1/2                */
/******************************************/


/* closeLoop loopL finalLoop=0 tailLoop=0 */
s_sub_u32 s[sgprLoopCounterL], s[sgprLoopCounterL], 1 // dec counterL
s_cmp_eq_i32 s[sgprLoopCounterL], 0x1              // counterL==1
s_cbranch_scc1 LoopEndL_oddexit_3                  // exit LoopL


/******************************************/
/* Unrolled Loop 2/2 - Begin              */
/******************************************/

label_0014: // LoopCopy2 

s_waitcnt lgkmcnt(0)                               // lgkmcnt=0 vmcnt=-11wait for local write

s_waitcnt lgkmcnt(0) & vmcnt(0)                    // force waitcnt0
s_barrier //4sync for global read


/* Begin Each Unroll: Check VGPR.checkin for INT8 LW */


	;; [unrolled: 1-line block ×3, first 2 shown]
/* iter 0 */

/*  grEndMfmaIndex:12, lwStartMfmaIndex:12, lwEndMfmaIndex:17  */
/*  numMfmaForLR:8, barrierMfmaIndex:0 */
/*  mfmaIndex:0  */
_ds_load_u16 v[vgprValuA_X0_I0+0], v[vgprLocalReadAddrA] offset:16384 // L -> Reg lro=0 swapByteOffset=16384 ti=64 vIdx=0 rIdx=0 oIdx=0 buffer=0 iui=0
_ds_load_u16_d16_hi v72, v[vgprLocalReadAddrA] offset:16512 // L -> Reg lro=0 swapByteOffset=16384 ti=64 vIdx=0 rIdx=1 oIdx=0 buffer=0 iui=0
_ds_load_u16 v[vgprValuA_X0_I0+1], v[vgprLocalReadAddrA] offset:16640 // L -> Reg lro=0 swapByteOffset=16384 ti=64 vIdx=0 rIdx=2 oIdx=0 buffer=0 iui=0
_ds_load_u16_d16_hi v73, v[vgprLocalReadAddrA] offset:16768 // L -> Reg lro=0 swapByteOffset=16384 ti=64 vIdx=0 rIdx=3 oIdx=0 buffer=0 iui=0
_ds_load_u16 v[vgprValuB_X0_I0+0], v[vgprLocalReadAddrB] offset:16384 // L -> Reg lro=0 swapByteOffset=16384 ti=16 vIdx=0 rIdx=0 oIdx=0 buffer=0 iui=0
_ds_load_u16_d16_hi v74, v[vgprLocalReadAddrB] offset:16672 // L -> Reg lro=0 swapByteOffset=16384 ti=16 vIdx=0 rIdx=1 oIdx=0 buffer=0 iui=0
_ds_load_u16 v[vgprValuB_X0_I0+1], v[vgprLocalReadAddrB] offset:16960 // L -> Reg lro=0 swapByteOffset=16384 ti=16 vIdx=0 rIdx=2 oIdx=0 buffer=0 iui=0
_ds_load_u16_d16_hi v75, v[vgprLocalReadAddrB] offset:17248 // L -> Reg lro=0 swapByteOffset=16384 ti=16 vIdx=0 rIdx=3 oIdx=0 buffer=0 iui=0
	;; [unrolled: 2-line block ×18, first 2 shown]
_buffer_load_b32 v[vgprG2LA+0], v[vgprGlobalReadOffsetA+0], s[sgprSrdA:sgprSrdA+3], 0, offen offset:0 // G -> Reg 0_0_0_0
s_waitcnt lgkmcnt(0)                               // lgkmcnt=0 vmcnt=-1wait for prior local read local write old=0, new=0 newLW=0 newLR=0
/* pack scheduling: packAIdx:2, packBIdx:2 */
v_or_b32 v[vgprValuA_X0_I0+0], v[vgprValuA_X0_I0+0], v72 // pack two half Vgpr to one Vgpr
v_or_b32 v[vgprValuA_X0_I0+1], v[vgprValuA_X0_I0+1], v73 // pack two half Vgpr to one Vgpr
v_or_b32 v[vgprValuB_X0_I0+0], v[vgprValuB_X0_I0+0], v74 // pack two half Vgpr to one Vgpr
v_or_b32 v[vgprValuB_X0_I0+1], v[vgprValuB_X0_I0+1], v75 // pack two half Vgpr to one Vgpr
	;; [unrolled: 1-line block ×4, first 2 shown]
v_mfma_f32_16x16x16f16 a[0+0:3+0], v[vgprValuA_X0_I0+0+0+0:vgprValuA_X0_I0+0+0+0+1], v[vgprValuB_X0_I0+0+0+0:vgprValuB_X0_I0+0+0+0+1], a[0:3]
/*  mfmaIndex:1  */
/* localReadsVacancy: latencyLeft 5 */
_ds_load_u16 v[vgprValuA_X1_I0+0], v[vgprLocalReadAddrA] offset:18432 // L -> Reg lro=1024 swapByteOffset=16384 ti=64 vIdx=0 rIdx=0 oIdx=0 buffer=1 iui=0
_ds_load_u16 v[vgprValuA_X1_I0+1], v[vgprLocalReadAddrA] offset:18688 // L -> Reg lro=1024 swapByteOffset=16384 ti=64 vIdx=0 rIdx=2 oIdx=0 buffer=1 iui=0
_buffer_load_b32 v[vgprG2LA+1], v[vgprGlobalReadOffsetA+1], s[sgprSrdA:sgprSrdA+3], 0, offen offset:0 // G -> Reg 0_0_1_0
/* pack scheduling: packAIdx:2, packBIdx:4 */
v_or_b32 v[vgprValuB_X0_I0+4], v[vgprValuB_X0_I0+4], v78 // pack two half Vgpr to one Vgpr
v_or_b32 v[vgprValuB_X0_I0+5], v[vgprValuB_X0_I0+5], v79 // pack two half Vgpr to one Vgpr
	;; [unrolled: 1-line block ×4, first 2 shown]
v_mfma_f32_16x16x16f16 a[4+0:7+0], v[vgprValuA_X0_I0+0+0+0:vgprValuA_X0_I0+0+0+0+1], v[vgprValuB_X0_I0+2+0+0:vgprValuB_X0_I0+2+0+0+1], a[4:7]
/*  mfmaIndex:2  */
/* localReadsVacancy: latencyLeft 5 */
_ds_load_u16 v[vgprValuB_X1_I0+0], v[vgprLocalReadAddrB] offset:20992 // L -> Reg lro=2304 swapByteOffset=16384 ti=16 vIdx=0 rIdx=0 oIdx=0 buffer=1 iui=0
_ds_load_u16 v[vgprValuB_X1_I0+1], v[vgprLocalReadAddrB] offset:21568 // L -> Reg lro=2304 swapByteOffset=16384 ti=16 vIdx=0 rIdx=2 oIdx=0 buffer=1 iui=0
_buffer_load_b32 v[vgprG2LA+2], v[vgprGlobalReadOffsetA+2], s[sgprSrdA:sgprSrdA+3], 0, offen offset:0 // G -> Reg 0_0_2_0
/* pack scheduling: packAIdx:2, packBIdx:6 */
v_or_b32 v[vgprValuB_X0_I0+8], v[vgprValuB_X0_I0+8], v82 // pack two half Vgpr to one Vgpr
v_or_b32 v[vgprValuB_X0_I0+9], v[vgprValuB_X0_I0+9], v83 // pack two half Vgpr to one Vgpr
	;; [unrolled: 1-line block ×4, first 2 shown]
v_mfma_f32_16x16x16f16 a[8+0:11+0], v[vgprValuA_X0_I0+0+0+0:vgprValuA_X0_I0+0+0+0+1], v[vgprValuB_X0_I0+4+0+0:vgprValuB_X0_I0+4+0+0+1], a[8:11]
/*  mfmaIndex:3  */
/* localReadsVacancy: latencyLeft 5 */
_ds_load_u16 v[vgprValuB_X1_I0+2], v[vgprLocalReadAddrB] offset:21024 // L -> Reg lro=2304 swapByteOffset=16384 ti=16 vIdx=1 rIdx=0 oIdx=0 buffer=1 iui=0
_ds_load_u16 v[vgprValuB_X1_I0+3], v[vgprLocalReadAddrB] offset:21600 // L -> Reg lro=2304 swapByteOffset=16384 ti=16 vIdx=1 rIdx=2 oIdx=0 buffer=1 iui=0
_buffer_load_b32 v[vgprG2LA+3], v[vgprGlobalReadOffsetA+3], s[sgprSrdA:sgprSrdA+3], 0, offen offset:0 // G -> Reg 0_0_3_0
/* pack scheduling: packAIdx:2, packBIdx:8 */
v_or_b32 v[vgprValuB_X0_I0+12], v[vgprValuB_X0_I0+12], v86 // pack two half Vgpr to one Vgpr
v_or_b32 v[vgprValuB_X0_I0+13], v[vgprValuB_X0_I0+13], v87 // pack two half Vgpr to one Vgpr
	;; [unrolled: 1-line block ×4, first 2 shown]
v_mfma_f32_16x16x16f16 a[12+0:15+0], v[vgprValuA_X0_I0+0+0+0:vgprValuA_X0_I0+0+0+0+1], v[vgprValuB_X0_I0+6+0+0:vgprValuB_X0_I0+6+0+0+1], a[12:15]
/*  mfmaIndex:4  */
/* localReadsVacancy: latencyLeft 5 */
_ds_load_u16 v[vgprValuB_X1_I0+4], v[vgprLocalReadAddrB] offset:21056 // L -> Reg lro=2304 swapByteOffset=16384 ti=16 vIdx=2 rIdx=0 oIdx=0 buffer=1 iui=0
_ds_load_u16 v[vgprValuB_X1_I0+5], v[vgprLocalReadAddrB] offset:21632 // L -> Reg lro=2304 swapByteOffset=16384 ti=16 vIdx=2 rIdx=2 oIdx=0 buffer=1 iui=0
_buffer_load_b32 v[vgprG2LB+0], v[vgprGlobalReadOffsetB+0], s[sgprSrdB:sgprSrdB+3], 0, offen offset:0 // G -> Reg 0_0_0_0
/* pack scheduling: packAIdx:2, packBIdx:10 */
v_or_b32 v[vgprValuB_X0_I0+16], v[vgprValuB_X0_I0+16], v90 // pack two half Vgpr to one Vgpr
v_or_b32 v[vgprValuB_X0_I0+17], v[vgprValuB_X0_I0+17], v91 // pack two half Vgpr to one Vgpr
v_mfma_f32_16x16x16f16 a[16+0:19+0], v[vgprValuA_X0_I0+0+0+0:vgprValuA_X0_I0+0+0+0+1], v[vgprValuB_X0_I0+8+0+0:vgprValuB_X0_I0+8+0+0+1], a[16:19]
/*  mfmaIndex:5  */
/* localReadsVacancy: latencyLeft 5 */
_ds_load_u16 v[vgprValuB_X1_I0+6], v[vgprLocalReadAddrB] offset:21088 // L -> Reg lro=2304 swapByteOffset=16384 ti=16 vIdx=3 rIdx=0 oIdx=0 buffer=1 iui=0
_ds_load_u16 v[vgprValuB_X1_I0+7], v[vgprLocalReadAddrB] offset:21664 // L -> Reg lro=2304 swapByteOffset=16384 ti=16 vIdx=3 rIdx=2 oIdx=0 buffer=1 iui=0
_buffer_load_b32 v[vgprG2LB+1], v[vgprGlobalReadOffsetB+1], s[sgprSrdB:sgprSrdB+3], 0, offen offset:0 // G -> Reg 1_0_0_0
v_mfma_f32_16x16x16f16 a[20+0:23+0], v[vgprValuA_X0_I0+0+0+0:vgprValuA_X0_I0+0+0+0+1], v[vgprValuB_X0_I0+10+0+0:vgprValuB_X0_I0+10+0+0+1], a[20:23]
/*  mfmaIndex:6  */
/* localReadsVacancy: latencyLeft 5 */
_ds_load_u16 v[vgprValuB_X1_I0+8], v[vgprLocalReadAddrB] offset:21120 // L -> Reg lro=2304 swapByteOffset=16384 ti=16 vIdx=4 rIdx=0 oIdx=0 buffer=1 iui=0
_ds_load_u16 v[vgprValuB_X1_I0+9], v[vgprLocalReadAddrB] offset:21696 // L -> Reg lro=2304 swapByteOffset=16384 ti=16 vIdx=4 rIdx=2 oIdx=0 buffer=1 iui=0
_buffer_load_b32 v[vgprG2LB+2], v[vgprGlobalReadOffsetB+2], s[sgprSrdB:sgprSrdB+3], 0, offen offset:0 // G -> Reg 2_0_0_0
v_mfma_f32_16x16x16f16 a[24+0:27+0], v[vgprValuA_X0_I0+0+0+0:vgprValuA_X0_I0+0+0+0+1], v[vgprValuB_X0_I0+12+0+0:vgprValuB_X0_I0+12+0+0+1], a[24:27]
/*  mfmaIndex:7  */
/* localReadsVacancy: latencyLeft 5 */
_ds_load_u16 v[vgprValuB_X1_I0+10], v[vgprLocalReadAddrB] offset:21152 // L -> Reg lro=2304 swapByteOffset=16384 ti=16 vIdx=5 rIdx=0 oIdx=0 buffer=1 iui=0
_ds_load_u16 v[vgprValuB_X1_I0+11], v[vgprLocalReadAddrB] offset:21728 // L -> Reg lro=2304 swapByteOffset=16384 ti=16 vIdx=5 rIdx=2 oIdx=0 buffer=1 iui=0
_buffer_load_b32 v[vgprG2LB+3], v[vgprGlobalReadOffsetB+3], s[sgprSrdB:sgprSrdB+3], 0, offen offset:0 // G -> Reg 3_0_0_0
v_mfma_f32_16x16x16f16 a[28+0:31+0], v[vgprValuA_X0_I0+0+0+0:vgprValuA_X0_I0+0+0+0+1], v[vgprValuB_X0_I0+14+0+0:vgprValuB_X0_I0+14+0+0+1], a[28:31]
/*  mfmaIndex:8  */
/* localReadsVacancy: latencyLeft 5 */
_ds_load_u16 v[vgprValuB_X1_I0+12], v[vgprLocalReadAddrB] offset:21184 // L -> Reg lro=2304 swapByteOffset=16384 ti=16 vIdx=6 rIdx=0 oIdx=0 buffer=1 iui=0
_ds_load_u16 v[vgprValuB_X1_I0+13], v[vgprLocalReadAddrB] offset:21760 // L -> Reg lro=2304 swapByteOffset=16384 ti=16 vIdx=6 rIdx=2 oIdx=0 buffer=1 iui=0
_buffer_load_b32 v[vgprG2LB+4], v[vgprGlobalReadOffsetB+4], s[sgprSrdB:sgprSrdB+3], 0, offen offset:0 // G -> Reg 4_0_0_0
_buffer_load_b32 v[vgprG2LB+5], v[vgprGlobalReadOffsetB+5], s[sgprSrdB:sgprSrdB+3], 0, offen offset:0 // G -> Reg 5_0_0_0
v_mfma_f32_16x16x16f16 a[32+0:35+0], v[vgprValuA_X0_I0+0+0+0:vgprValuA_X0_I0+0+0+0+1], v[vgprValuB_X0_I0+16+0+0:vgprValuB_X0_I0+16+0+0+1], a[32:35]
/* numPrefetchIter=0 */
/* dataAtIterA=0 numReadsIterA=1 skipReadsIterA=0 readsPerIterA=4 */
/* dataAtIterB=0 numReadsIterB=1 skipReadsIterB=0 readsPerIterB=36 */


/* iter 1 (reset local read pointers iteration)  (swap and reset local write pointers iteration)  (swap local read pointers iteration)  */

/*  grEndMfmaIndex:12, lwStartMfmaIndex:12, lwEndMfmaIndex:17  */
/*  numMfmaForLR:8, barrierMfmaIndex:0 */
/*  mfmaIndex:9  */
_ds_load_u16_d16_hi v72, v[vgprLocalReadAddrA] offset:18560 // L -> Reg lro=1024 swapByteOffset=16384 ti=64 vIdx=0 rIdx=1 oIdx=0 buffer=1 iui=0
_ds_load_u16_d16_hi v73, v[vgprLocalReadAddrA] offset:18816 // L -> Reg lro=1024 swapByteOffset=16384 ti=64 vIdx=0 rIdx=3 oIdx=0 buffer=1 iui=0
_ds_load_u16_d16_hi v74, v[vgprLocalReadAddrB] offset:21280 // L -> Reg lro=2304 swapByteOffset=16384 ti=16 vIdx=0 rIdx=1 oIdx=0 buffer=1 iui=0
_ds_load_u16_d16_hi v75, v[vgprLocalReadAddrB] offset:21856 // L -> Reg lro=2304 swapByteOffset=16384 ti=16 vIdx=0 rIdx=3 oIdx=0 buffer=1 iui=0
	;; [unrolled: 1-line block ×14, first 2 shown]
_ds_load_u16 v[vgprValuB_X1_I0+14], v[vgprLocalReadAddrB] offset:21216 // L -> Reg lro=2304 swapByteOffset=16384 ti=16 vIdx=7 rIdx=0 oIdx=0 buffer=1 iui=0
_ds_load_u16_d16_hi v88, v[vgprLocalReadAddrB] offset:21504 // L -> Reg lro=2304 swapByteOffset=16384 ti=16 vIdx=7 rIdx=1 oIdx=0 buffer=1 iui=0
_ds_load_u16 v[vgprValuB_X1_I0+15], v[vgprLocalReadAddrB] offset:21792 // L -> Reg lro=2304 swapByteOffset=16384 ti=16 vIdx=7 rIdx=2 oIdx=0 buffer=1 iui=0
_ds_load_u16_d16_hi v89, v[vgprLocalReadAddrB] offset:22080 // L -> Reg lro=2304 swapByteOffset=16384 ti=16 vIdx=7 rIdx=3 oIdx=0 buffer=1 iui=0
	;; [unrolled: 2-line block ×4, first 2 shown]
_buffer_load_b32 v[vgprG2LB+6], v[vgprGlobalReadOffsetB+6], s[sgprSrdB:sgprSrdB+3], 0, offen offset:0 // G -> Reg 6_0_0_0
s_waitcnt lgkmcnt(0)                               // lgkmcnt=0 vmcnt=-1wait for prior local read local write old=0, new=0 newLW=0 newLR=0
/* pack scheduling: packAIdx:2, packBIdx:2 */
v_or_b32 v[vgprValuA_X1_I0+0], v[vgprValuA_X1_I0+0], v72 // pack two half Vgpr to one Vgpr
v_or_b32 v[vgprValuA_X1_I0+1], v[vgprValuA_X1_I0+1], v73 // pack two half Vgpr to one Vgpr
v_or_b32 v[vgprValuB_X1_I0+0], v[vgprValuB_X1_I0+0], v74 // pack two half Vgpr to one Vgpr
v_or_b32 v[vgprValuB_X1_I0+1], v[vgprValuB_X1_I0+1], v75 // pack two half Vgpr to one Vgpr
	;; [unrolled: 1-line block ×4, first 2 shown]
v_mfma_f32_16x16x16f16 a[0+0:3+0], v[vgprValuA_X1_I0+0+0+0:vgprValuA_X1_I0+0+0+0+1], v[vgprValuB_X1_I0+0+0+0:vgprValuB_X1_I0+0+0+0+1], a[0:3]
/*  mfmaIndex:10  */
/* localReadsVacancy: latencyLeft 5 */
_buffer_load_b32 v[vgprG2LB+7], v[vgprGlobalReadOffsetB+7], s[sgprSrdB:sgprSrdB+3], 0, offen offset:0 // G -> Reg 7_0_0_0
/* pack scheduling: packAIdx:2, packBIdx:4 */
v_or_b32 v[vgprValuB_X1_I0+4], v[vgprValuB_X1_I0+4], v78 // pack two half Vgpr to one Vgpr
v_or_b32 v[vgprValuB_X1_I0+5], v[vgprValuB_X1_I0+5], v79 // pack two half Vgpr to one Vgpr
	;; [unrolled: 1-line block ×4, first 2 shown]
v_mfma_f32_16x16x16f16 a[4+0:7+0], v[vgprValuA_X1_I0+0+0+0:vgprValuA_X1_I0+0+0+0+1], v[vgprValuB_X1_I0+2+0+0:vgprValuB_X1_I0+2+0+0+1], a[4:7]
/*  mfmaIndex:11  */
/* localReadsVacancy: latencyLeft 5 */
_buffer_load_b32 v[vgprG2LB+8], v[vgprGlobalReadOffsetB+8], s[sgprSrdB:sgprSrdB+3], 0, offen offset:0 // G -> Reg 8_0_0_0
/* pack scheduling: packAIdx:2, packBIdx:6 */
v_or_b32 v[vgprValuB_X1_I0+8], v[vgprValuB_X1_I0+8], v82 // pack two half Vgpr to one Vgpr
v_or_b32 v[vgprValuB_X1_I0+9], v[vgprValuB_X1_I0+9], v83 // pack two half Vgpr to one Vgpr
	;; [unrolled: 1-line block ×4, first 2 shown]
v_mfma_f32_16x16x16f16 a[8+0:11+0], v[vgprValuA_X1_I0+0+0+0:vgprValuA_X1_I0+0+0+0+1], v[vgprValuB_X1_I0+4+0+0:vgprValuB_X1_I0+4+0+0+1], a[8:11]
/*  mfmaIndex:12  */
/* localReadsVacancy: latencyLeft 5 */

/* global read inc A loopL */
s_cmp_eq_u32 s[sgprLoopCounterL], s[sgprStaggerUIter] // Is this the wrapIter?
s_cselect_b32 s56, s[sgprWrapUA+0], s[sgprGlobalReadIncsA+0] // incLower <- ?
s_cselect_b32 s57, s[sgprWrapUA+1], 0              // incUpper <- ?
/* sched write - iter 1 writesPerItem=1 */
s_waitcnt vmcnt(0)                                 // lgkmcnt=-1 vmcnt=0wait for global read before writing to local
_ds_store_b32 v[vgprLocalWriteAddrA], v[vgprG2LA+0] offset:0 // lwoA_0_0_0_0 = (0*LSCA) + (0*LSPA)(*MT0I+PAD) = 0
/* pack scheduling: packAIdx:2, packBIdx:8 */
v_or_b32 v[vgprValuB_X1_I0+12], v[vgprValuB_X1_I0+12], v86 // pack two half Vgpr to one Vgpr
v_or_b32 v[vgprValuB_X1_I0+13], v[vgprValuB_X1_I0+13], v87 // pack two half Vgpr to one Vgpr
	;; [unrolled: 1-line block ×4, first 2 shown]
v_mfma_f32_16x16x16f16 a[12+0:15+0], v[vgprValuA_X1_I0+0+0+0:vgprValuA_X1_I0+0+0+0+1], v[vgprValuB_X1_I0+6+0+0:vgprValuB_X1_I0+6+0+0+1], a[12:15]
/*  mfmaIndex:13  */
/* localReadsVacancy: latencyLeft 5 */
s_add_u32 s[sgprSrdA+0], s[sgprSrdA+0], s56        // gra SRD += inc(lower)
s_addc_u32  s[sgprSrdA+1], s[sgprSrdA+1], s57      // gra SRD += inc(upper)
s_sub_u32 s[sgprShadowLimitA+0], s[sgprShadowLimitA+0], s56 // limit -= inc)
/* sched write - iter 1 writesPerItem=1 */
s_waitcnt vmcnt(0)                                 // lgkmcnt=-1 vmcnt=0wait for global read before writing to local
_ds_store_b32 v[vgprLocalWriteAddrA], v[vgprG2LA+1] offset:256 // lwoA_0_0_1_0 = (0*LSCA) + (1*LSPA)(*MT0I+PAD) = 256
/* pack scheduling: packAIdx:2, packBIdx:10 */
v_or_b32 v[vgprValuB_X1_I0+16], v[vgprValuB_X1_I0+16], v90 // pack two half Vgpr to one Vgpr
v_or_b32 v[vgprValuB_X1_I0+17], v[vgprValuB_X1_I0+17], v91 // pack two half Vgpr to one Vgpr
v_mfma_f32_16x16x16f16 a[16+0:19+0], v[vgprValuA_X1_I0+0+0+0:vgprValuA_X1_I0+0+0+0+1], v[vgprValuB_X1_I0+8+0+0:vgprValuB_X1_I0+8+0+0+1], a[16:19]
/*  mfmaIndex:14  */
/* localReadsVacancy: latencyLeft 5 */
s_subb_u32 s[sgprShadowLimitA+1], s[sgprShadowLimitA+1], s57 // limit -= inc)
s_cmp_eq_u32 s[sgprShadowLimitA+1], 0              // are we within 2^32?
s_cselect_b32 s[sgprSrdA+2], s[sgprShadowLimitA+0], BufferLimitA // Move shadow to real if we are within 2^32
/* sched write - iter 1 writesPerItem=1 */
s_waitcnt vmcnt(0)                                 // lgkmcnt=-1 vmcnt=0wait for global read before writing to local
_ds_store_b32 v[vgprLocalWriteAddrA], v[vgprG2LA+2] offset:512 // lwoA_0_0_2_0 = (0*LSCA) + (2*LSPA)(*MT0I+PAD) = 512
v_mfma_f32_16x16x16f16 a[20+0:23+0], v[vgprValuA_X1_I0+0+0+0:vgprValuA_X1_I0+0+0+0+1], v[vgprValuB_X1_I0+10+0+0:vgprValuB_X1_I0+10+0+0+1], a[20:23]
/*  mfmaIndex:15  */
/* localReadsVacancy: latencyLeft 5 */

/* global read inc B loopL */
s_cmp_eq_u32 s[sgprLoopCounterL], s[sgprStaggerUIter] // Is this the wrapIter?
s_cselect_b32 s56, s[sgprWrapUB+0], s[sgprGlobalReadIncsB+0] // incLower <- ?
s_cselect_b32 s57, s[sgprWrapUB+1], 0              // incUpper <- ?
/* sched write - iter 1 writesPerItem=1 */
s_waitcnt vmcnt(0)                                 // lgkmcnt=-1 vmcnt=0wait for global read before writing to local
_ds_store_b32 v[vgprLocalWriteAddrA], v[vgprG2LA+3] offset:768 // lwoA_0_0_3_0 = (0*LSCA) + (3*LSPA)(*MT0I+PAD) = 768
v_mfma_f32_16x16x16f16 a[24+0:27+0], v[vgprValuA_X1_I0+0+0+0:vgprValuA_X1_I0+0+0+0+1], v[vgprValuB_X1_I0+12+0+0:vgprValuB_X1_I0+12+0+0+1], a[24:27]
/*  mfmaIndex:16  */
/* localReadsVacancy: latencyLeft 5 */
s_add_u32 s[sgprSrdB+0], s[sgprSrdB+0], s56        // gra SRD += inc(lower)
s_addc_u32  s[sgprSrdB+1], s[sgprSrdB+1], s57      // gra SRD += inc(upper)
s_sub_u32 s[sgprShadowLimitB+0], s[sgprShadowLimitB+0], s56 // limit -= inc)
/* sched write - iter 1 writesPerItem=1 */
s_waitcnt vmcnt(0)                                 // lgkmcnt=-1 vmcnt=0wait for global read before writing to local
_ds_store_b32 v[vgprLocalWriteAddrB], v[vgprG2LB+0] offset:0 // lwoB_0_0_0_0 = (0*LSCB) + (0*LSPB)(*MT1J+PAD) = 0
v_mfma_f32_16x16x16f16 a[28+0:31+0], v[vgprValuA_X1_I0+0+0+0:vgprValuA_X1_I0+0+0+0+1], v[vgprValuB_X1_I0+14+0+0:vgprValuB_X1_I0+14+0+0+1], a[28:31]
/*  mfmaIndex:17  */
/* localReadsVacancy: latencyLeft 5 */
s_subb_u32 s[sgprShadowLimitB+1], s[sgprShadowLimitB+1], s57 // limit -= inc)
s_cmp_eq_u32 s[sgprShadowLimitB+1], 0              // are we within 2^32?
s_cselect_b32 s[sgprSrdB+2], s[sgprShadowLimitB+0], BufferLimitB // Move shadow to real if we are within 2^32
/* sched write - iter 1 writesPerItem=1 */
s_waitcnt vmcnt(0)                                 // lgkmcnt=-1 vmcnt=0wait for global read before writing to local
_ds_store_b32 v[vgprLocalWriteAddrB], v[vgprG2LB+1] offset:32 // lwoB_1_0_0_0 = (1*LSCB) + (0*LSPB)(*MT1J+PAD) = 32
/* sched write - iter 1 writesPerItem=1 */
s_waitcnt vmcnt(0)                                 // lgkmcnt=-1 vmcnt=0wait for global read before writing to local
_ds_store_b32 v[vgprLocalWriteAddrB], v[vgprG2LB+2] offset:64 // lwoB_2_0_0_0 = (2*LSCB) + (0*LSPB)(*MT1J+PAD) = 64
/* sched write - iter 1 writesPerItem=1 */
s_waitcnt vmcnt(0)                                 // lgkmcnt=-1 vmcnt=0wait for global read before writing to local
_ds_store_b32 v[vgprLocalWriteAddrB], v[vgprG2LB+3] offset:96 // lwoB_3_0_0_0 = (3*LSCB) + (0*LSPB)(*MT1J+PAD) = 96
/* sched write - iter 1 writesPerItem=1 */
s_waitcnt vmcnt(0)                                 // lgkmcnt=-1 vmcnt=0wait for global read before writing to local
_ds_store_b32 v[vgprLocalWriteAddrB], v[vgprG2LB+4] offset:128 // lwoB_4_0_0_0 = (4*LSCB) + (0*LSPB)(*MT1J+PAD) = 128
/* sched write - iter 1 writesPerItem=1 */
s_waitcnt vmcnt(0)                                 // lgkmcnt=-1 vmcnt=0wait for global read before writing to local
_ds_store_b32 v[vgprLocalWriteAddrB], v[vgprG2LB+5] offset:160 // lwoB_5_0_0_0 = (5*LSCB) + (0*LSPB)(*MT1J+PAD) = 160
/* sched write - iter 1 writesPerItem=1 */
s_waitcnt vmcnt(0)                                 // lgkmcnt=-1 vmcnt=0wait for global read before writing to local
_ds_store_b32 v[vgprLocalWriteAddrB], v[vgprG2LB+6] offset:192 // lwoB_6_0_0_0 = (6*LSCB) + (0*LSPB)(*MT1J+PAD) = 192
/* sched write - iter 1 writesPerItem=1 */
s_waitcnt vmcnt(0)                                 // lgkmcnt=-1 vmcnt=0wait for global read before writing to local
_ds_store_b32 v[vgprLocalWriteAddrB], v[vgprG2LB+7] offset:224 // lwoB_7_0_0_0 = (7*LSCB) + (0*LSPB)(*MT1J+PAD) = 224
/* sched write - iter 1 writesPerItem=1 */
s_waitcnt vmcnt(0)                                 // lgkmcnt=-1 vmcnt=0wait for global read before writing to local
_ds_store_b32 v[vgprLocalWriteAddrB], v[vgprG2LB+8] offset:256 // lwoB_8_0_0_0 = (8*LSCB) + (0*LSPB)(*MT1J+PAD) = 256

/* local write swap offsets a */

/* (EPS=1) local write swap internal offset -> 16384 */

/* local write swap offsets b */

/* (EPS=1) local write swap internal offset -> 16384 */

/* local read swap offsets a */

/* local read swap internal offset -> 0 */

/* local read swap offsets b */

/* local read swap internal offset -> 0 */

/* local read init pointers a */

/* localReadInitPointers */

/* local read init pointers b */

/* localReadInitPointers */
v_mfma_f32_16x16x16f16 a[32+0:35+0], v[vgprValuA_X1_I0+0+0+0:vgprValuA_X1_I0+0+0+0+1], v[vgprValuB_X1_I0+16+0+0:vgprValuB_X1_I0+16+0+0+1], a[32:35]
/* numPrefetchIter=0 */
/* dataAtIterA=1 numReadsIterA=2 skipReadsIterA=0 readsPerIterA=4 */
/* dataAtIterB=1 numReadsIterB=2 skipReadsIterB=0 readsPerIterB=36 */


/******************************************/
/* Unrolled Loop - End 2/2 (final)        */
/******************************************/


/* closeLoop loopL finalLoop=1 tailLoop=0 */
s_sub_u32 s[sgprLoopCounterL], s[sgprLoopCounterL], 1 // dec counterL
s_cmp_eq_i32 s[sgprLoopCounterL], 0x1              // counterL==1
s_cbranch_scc0 LoopBeginL_1                        // restart LoopL
LoopEndL_evenexit_4: // unroll loop eveniter exit
s_branch LoopEndL_2                                // exit unroll loopL (and skip second exit code)
LoopEndL_oddexit_3: // unroll loop odditer exit

/* Select high bank of LDS */
v_xor_b32 v[vgprLocalReadAddrA], 0x4000, v[vgprLocalReadAddrA] // swap Red Blk
v_xor_b32 v[vgprLocalReadAddrB], 0x4000, v[vgprLocalReadAddrB] // swap Red Blk
LoopEndL_2:


/* Before NLL: Check VGPR.checkin for INT8 LW */


/******************************************/
/* Opt. NoLoadLoop Without PAP - Begin                                      */
/******************************************/

s_cmpk_eq_u32 s[sgprBeta], 0x0                     // Beta == 0
s_cbranch_scc0 OptNLL_End_15                       // Branch if Beta is not zero

s_cmp_eq_u32 s[sgprAlpha], 1.0                     // Alpha == 1.0 ?
s_cbranch_scc0 OptNLL_End_15                       // branch if alpha != 1

s_and_b32 s56, 63, s[sgprSizeI]                    // s56 = s[sgprSizeI] % 64
s_add_u32 s57, -0x1, s[sgprNumWorkGroups0]         // 
s_cmp_ge_u32 s[sgprWorkGroup0], s57                // wg0 >= nwg0-1 ?
s_cselect_b32 s56, s56, 0                          // set rMT0
s_cmpk_gt_u32 s56, 0x0                             // rMT0 > 0
s_cbranch_scc1 OptNLL_End_15                       // jump if edges required
s_mov_b32 s59, 0x0                                 // STATIC_DIV: divisior=144
s_mul_i32 s58, 0x38e, s[sgprSizeJ]                 // tmp1 = dividend * magic hi
s_lshl_b64 s[58:59], s[58:59], 0x10                // left shift 16 bits
s_mul_i32 s57, s[sgprSizeJ], 0x38e4                // tmp0 = dividend * magic lo
s_add_u32 s58, s57, s58                            // add lo
s_addc_u32 s59, s59, 0x0                           // add hi
s_lshr_b64 s[58:59], s[58:59], 0x21                // tmp1 = (dividend * magic) << shift
s_mov_b32 s57, s58                                 // quotient
s_mul_i32 s58, s57, 0x90                           // quotient*divisor
s_sub_u32 s56, s[sgprSizeJ], s58                   // rReg = dividend - quotient*divisor
s_add_u32 s57, -0x1, s[sgprNumWorkGroups1]         // 
s_cmp_ge_u32 s[sgprWorkGroup1], s57                // wg1 >= nwg1-1
s_cselect_b32 s56, s56, 0                          // set rMT1
s_cmpk_gt_u32 s56, 0x0                             // rMT1 > 0
s_cbranch_scc1 OptNLL_End_15                       // jump if edges required

s_and_b32 s57, 31, s[sgprSizesSum+0]               // s57 = s[sgprSizesSum+0] % 32
s_cmp_eq_u32 s57, 0x0                              // numIterL == 0
s_cbranch_scc0 OptNLL_End_15                       // skip if tail loop required

s_waitcnt lgkmcnt(0)                               // lgkmcnt=0 vmcnt=-14wait for local write

s_waitcnt lgkmcnt(0) & vmcnt(0)                    // force waitcnt0
s_barrier //


	;; [unrolled: 1-line block ×3, first 2 shown]
/* iter 0 (last unrolled loop) */

/*  grEndMfmaIndex:0, lwStartMfmaIndex:17, lwEndMfmaIndex:17  */
/*  numMfmaForLR:8, barrierMfmaIndex:0 */
/*  mfmaIndex:0  */
_ds_load_u16 v[vgprValuA_X0_I0+0], v[vgprLocalReadAddrA] offset:0 // L -> Reg lro=0 swapByteOffset=0 ti=64 vIdx=0 rIdx=0 oIdx=0 buffer=0 iui=0
_ds_load_u16_d16_hi v72, v[vgprLocalReadAddrA] offset:128 // L -> Reg lro=0 swapByteOffset=0 ti=64 vIdx=0 rIdx=1 oIdx=0 buffer=0 iui=0
_ds_load_u16 v[vgprValuA_X0_I0+1], v[vgprLocalReadAddrA] offset:256 // L -> Reg lro=0 swapByteOffset=0 ti=64 vIdx=0 rIdx=2 oIdx=0 buffer=0 iui=0
_ds_load_u16_d16_hi v73, v[vgprLocalReadAddrA] offset:384 // L -> Reg lro=0 swapByteOffset=0 ti=64 vIdx=0 rIdx=3 oIdx=0 buffer=0 iui=0
_ds_load_u16 v[vgprValuB_X0_I0+0], v[vgprLocalReadAddrB] offset:0 // L -> Reg lro=0 swapByteOffset=0 ti=16 vIdx=0 rIdx=0 oIdx=0 buffer=0 iui=0
_ds_load_u16_d16_hi v74, v[vgprLocalReadAddrB] offset:288 // L -> Reg lro=0 swapByteOffset=0 ti=16 vIdx=0 rIdx=1 oIdx=0 buffer=0 iui=0
_ds_load_u16 v[vgprValuB_X0_I0+1], v[vgprLocalReadAddrB] offset:576 // L -> Reg lro=0 swapByteOffset=0 ti=16 vIdx=0 rIdx=2 oIdx=0 buffer=0 iui=0
_ds_load_u16_d16_hi v75, v[vgprLocalReadAddrB] offset:864 // L -> Reg lro=0 swapByteOffset=0 ti=16 vIdx=0 rIdx=3 oIdx=0 buffer=0 iui=0
	;; [unrolled: 2-line block ×18, first 2 shown]
s_waitcnt lgkmcnt(0)                               // lgkmcnt=0 vmcnt=-1wait for prior local read local write old=0, new=0 newLW=0 newLR=0
/* pack scheduling: packAIdx:2, packBIdx:2 */
v_or_b32 v[vgprValuA_X0_I0+0], v[vgprValuA_X0_I0+0], v72 // pack two half Vgpr to one Vgpr
v_or_b32 v[vgprValuA_X0_I0+1], v[vgprValuA_X0_I0+1], v73 // pack two half Vgpr to one Vgpr
v_or_b32 v[vgprValuB_X0_I0+0], v[vgprValuB_X0_I0+0], v74 // pack two half Vgpr to one Vgpr
v_or_b32 v[vgprValuB_X0_I0+1], v[vgprValuB_X0_I0+1], v75 // pack two half Vgpr to one Vgpr
	;; [unrolled: 1-line block ×4, first 2 shown]
v_mfma_f32_16x16x16f16 a[0+0:3+0], v[vgprValuA_X0_I0+0+0+0:vgprValuA_X0_I0+0+0+0+1], v[vgprValuB_X0_I0+0+0+0:vgprValuB_X0_I0+0+0+0+1], a[0:3]
/*  mfmaIndex:1  */
/* localReadsVacancy: latencyLeft 5 */
_ds_load_u16 v[vgprValuA_X1_I0+0], v[vgprLocalReadAddrA] offset:2048 // L -> Reg lro=1024 swapByteOffset=0 ti=64 vIdx=0 rIdx=0 oIdx=0 buffer=1 iui=0
_ds_load_u16 v[vgprValuA_X1_I0+1], v[vgprLocalReadAddrA] offset:2304 // L -> Reg lro=1024 swapByteOffset=0 ti=64 vIdx=0 rIdx=2 oIdx=0 buffer=1 iui=0
/* pack scheduling: packAIdx:2, packBIdx:4 */
v_or_b32 v[vgprValuB_X0_I0+4], v[vgprValuB_X0_I0+4], v78 // pack two half Vgpr to one Vgpr
v_or_b32 v[vgprValuB_X0_I0+5], v[vgprValuB_X0_I0+5], v79 // pack two half Vgpr to one Vgpr
v_or_b32 v[vgprValuB_X0_I0+6], v[vgprValuB_X0_I0+6], v80 // pack two half Vgpr to one Vgpr
v_or_b32 v[vgprValuB_X0_I0+7], v[vgprValuB_X0_I0+7], v81 // pack two half Vgpr to one Vgpr
v_mfma_f32_16x16x16f16 a[4+0:7+0], v[vgprValuA_X0_I0+0+0+0:vgprValuA_X0_I0+0+0+0+1], v[vgprValuB_X0_I0+2+0+0:vgprValuB_X0_I0+2+0+0+1], a[4:7]
/*  mfmaIndex:2  */
/* localReadsVacancy: latencyLeft 5 */
_ds_load_u16 v[vgprValuB_X1_I0+0], v[vgprLocalReadAddrB] offset:4608 // L -> Reg lro=2304 swapByteOffset=0 ti=16 vIdx=0 rIdx=0 oIdx=0 buffer=1 iui=0
_ds_load_u16 v[vgprValuB_X1_I0+1], v[vgprLocalReadAddrB] offset:5184 // L -> Reg lro=2304 swapByteOffset=0 ti=16 vIdx=0 rIdx=2 oIdx=0 buffer=1 iui=0
/* pack scheduling: packAIdx:2, packBIdx:6 */
v_or_b32 v[vgprValuB_X0_I0+8], v[vgprValuB_X0_I0+8], v82 // pack two half Vgpr to one Vgpr
v_or_b32 v[vgprValuB_X0_I0+9], v[vgprValuB_X0_I0+9], v83 // pack two half Vgpr to one Vgpr
v_or_b32 v[vgprValuB_X0_I0+10], v[vgprValuB_X0_I0+10], v84 // pack two half Vgpr to one Vgpr
v_or_b32 v[vgprValuB_X0_I0+11], v[vgprValuB_X0_I0+11], v85 // pack two half Vgpr to one Vgpr
v_mfma_f32_16x16x16f16 a[8+0:11+0], v[vgprValuA_X0_I0+0+0+0:vgprValuA_X0_I0+0+0+0+1], v[vgprValuB_X0_I0+4+0+0:vgprValuB_X0_I0+4+0+0+1], a[8:11]
/*  mfmaIndex:3  */
/* localReadsVacancy: latencyLeft 5 */
_ds_load_u16 v[vgprValuB_X1_I0+2], v[vgprLocalReadAddrB] offset:4640 // L -> Reg lro=2304 swapByteOffset=0 ti=16 vIdx=1 rIdx=0 oIdx=0 buffer=1 iui=0
_ds_load_u16 v[vgprValuB_X1_I0+3], v[vgprLocalReadAddrB] offset:5216 // L -> Reg lro=2304 swapByteOffset=0 ti=16 vIdx=1 rIdx=2 oIdx=0 buffer=1 iui=0
	;; [unrolled: 10-line block ×3, first 2 shown]
/* pack scheduling: packAIdx:2, packBIdx:10 */
v_or_b32 v[vgprValuB_X0_I0+16], v[vgprValuB_X0_I0+16], v90 // pack two half Vgpr to one Vgpr
v_or_b32 v[vgprValuB_X0_I0+17], v[vgprValuB_X0_I0+17], v91 // pack two half Vgpr to one Vgpr
v_mfma_f32_16x16x16f16 a[16+0:19+0], v[vgprValuA_X0_I0+0+0+0:vgprValuA_X0_I0+0+0+0+1], v[vgprValuB_X0_I0+8+0+0:vgprValuB_X0_I0+8+0+0+1], a[16:19]
/*  mfmaIndex:5  */
/* localReadsVacancy: latencyLeft 5 */
_ds_load_u16 v[vgprValuB_X1_I0+6], v[vgprLocalReadAddrB] offset:4704 // L -> Reg lro=2304 swapByteOffset=0 ti=16 vIdx=3 rIdx=0 oIdx=0 buffer=1 iui=0
_ds_load_u16 v[vgprValuB_X1_I0+7], v[vgprLocalReadAddrB] offset:5280 // L -> Reg lro=2304 swapByteOffset=0 ti=16 vIdx=3 rIdx=2 oIdx=0 buffer=1 iui=0
v_mfma_f32_16x16x16f16 a[20+0:23+0], v[vgprValuA_X0_I0+0+0+0:vgprValuA_X0_I0+0+0+0+1], v[vgprValuB_X0_I0+10+0+0:vgprValuB_X0_I0+10+0+0+1], a[20:23]
/*  mfmaIndex:6  */
/* localReadsVacancy: latencyLeft 5 */
_ds_load_u16 v[vgprValuB_X1_I0+8], v[vgprLocalReadAddrB] offset:4736 // L -> Reg lro=2304 swapByteOffset=0 ti=16 vIdx=4 rIdx=0 oIdx=0 buffer=1 iui=0
_ds_load_u16 v[vgprValuB_X1_I0+9], v[vgprLocalReadAddrB] offset:5312 // L -> Reg lro=2304 swapByteOffset=0 ti=16 vIdx=4 rIdx=2 oIdx=0 buffer=1 iui=0
	;; [unrolled: 5-line block ×4, first 2 shown]
v_mfma_f32_16x16x16f16 a[32+0:35+0], v[vgprValuA_X0_I0+0+0+0:vgprValuA_X0_I0+0+0+0+1], v[vgprValuB_X0_I0+16+0+0:vgprValuB_X0_I0+16+0+0+1], a[32:35]
/* numPrefetchIter=0 */
/* dataAtIterA=0 numReadsIterA=1 skipReadsIterA=0 readsPerIterA=4 */
/* dataAtIterB=0 numReadsIterB=1 skipReadsIterB=0 readsPerIterB=36 */


/* iter 1 (last unrolled loop) */

/*  grEndMfmaIndex:0, lwStartMfmaIndex:17, lwEndMfmaIndex:17  */
/*  numMfmaForLR:8, barrierMfmaIndex:0 */
/*  mfmaIndex:9  */
_ds_load_u16_d16_hi v72, v[vgprLocalReadAddrA] offset:2176 // L -> Reg lro=1024 swapByteOffset=0 ti=64 vIdx=0 rIdx=1 oIdx=0 buffer=1 iui=0
_ds_load_u16_d16_hi v73, v[vgprLocalReadAddrA] offset:2432 // L -> Reg lro=1024 swapByteOffset=0 ti=64 vIdx=0 rIdx=3 oIdx=0 buffer=1 iui=0
_ds_load_u16_d16_hi v74, v[vgprLocalReadAddrB] offset:4896 // L -> Reg lro=2304 swapByteOffset=0 ti=16 vIdx=0 rIdx=1 oIdx=0 buffer=1 iui=0
_ds_load_u16_d16_hi v75, v[vgprLocalReadAddrB] offset:5472 // L -> Reg lro=2304 swapByteOffset=0 ti=16 vIdx=0 rIdx=3 oIdx=0 buffer=1 iui=0
	;; [unrolled: 1-line block ×14, first 2 shown]
_ds_load_u16 v[vgprValuB_X1_I0+14], v[vgprLocalReadAddrB] offset:4832 // L -> Reg lro=2304 swapByteOffset=0 ti=16 vIdx=7 rIdx=0 oIdx=0 buffer=1 iui=0
_ds_load_u16_d16_hi v88, v[vgprLocalReadAddrB] offset:5120 // L -> Reg lro=2304 swapByteOffset=0 ti=16 vIdx=7 rIdx=1 oIdx=0 buffer=1 iui=0
_ds_load_u16 v[vgprValuB_X1_I0+15], v[vgprLocalReadAddrB] offset:5408 // L -> Reg lro=2304 swapByteOffset=0 ti=16 vIdx=7 rIdx=2 oIdx=0 buffer=1 iui=0
_ds_load_u16_d16_hi v89, v[vgprLocalReadAddrB] offset:5696 // L -> Reg lro=2304 swapByteOffset=0 ti=16 vIdx=7 rIdx=3 oIdx=0 buffer=1 iui=0
_ds_load_u16 v[vgprValuB_X1_I0+16], v[vgprLocalReadAddrB] offset:4864 // L -> Reg lro=2304 swapByteOffset=0 ti=16 vIdx=8 rIdx=0 oIdx=0 buffer=1 iui=0
_ds_load_u16_d16_hi v90, v[vgprLocalReadAddrB] offset:5152 // L -> Reg lro=2304 swapByteOffset=0 ti=16 vIdx=8 rIdx=1 oIdx=0 buffer=1 iui=0
_ds_load_u16 v[vgprValuB_X1_I0+17], v[vgprLocalReadAddrB] offset:5440 // L -> Reg lro=2304 swapByteOffset=0 ti=16 vIdx=8 rIdx=2 oIdx=0 buffer=1 iui=0
_ds_load_u16_d16_hi v91, v[vgprLocalReadAddrB] offset:5728 // L -> Reg lro=2304 swapByteOffset=0 ti=16 vIdx=8 rIdx=3 oIdx=0 buffer=1 iui=0
s_waitcnt lgkmcnt(0)                               // lgkmcnt=0 vmcnt=-1wait for prior local read local write old=0, new=0 newLW=0 newLR=0
/* pack scheduling: packAIdx:2, packBIdx:2 */
v_or_b32 v[vgprValuA_X1_I0+0], v[vgprValuA_X1_I0+0], v72 // pack two half Vgpr to one Vgpr
v_or_b32 v[vgprValuA_X1_I0+1], v[vgprValuA_X1_I0+1], v73 // pack two half Vgpr to one Vgpr
v_or_b32 v[vgprValuB_X1_I0+0], v[vgprValuB_X1_I0+0], v74 // pack two half Vgpr to one Vgpr
v_or_b32 v[vgprValuB_X1_I0+1], v[vgprValuB_X1_I0+1], v75 // pack two half Vgpr to one Vgpr
v_or_b32 v[vgprValuB_X1_I0+2], v[vgprValuB_X1_I0+2], v76 // pack two half Vgpr to one Vgpr
v_or_b32 v[vgprValuB_X1_I0+3], v[vgprValuB_X1_I0+3], v77 // pack two half Vgpr to one Vgpr
v_mfma_f32_16x16x16f16 a[0+0:3+0], v[vgprValuA_X1_I0+0+0+0:vgprValuA_X1_I0+0+0+0+1], v[vgprValuB_X1_I0+0+0+0:vgprValuB_X1_I0+0+0+0+1], a[0:3]
/*  mfmaIndex:10  */
/* localReadsVacancy: latencyLeft 5 */
/* pack scheduling: packAIdx:2, packBIdx:4 */
v_or_b32 v[vgprValuB_X1_I0+4], v[vgprValuB_X1_I0+4], v78 // pack two half Vgpr to one Vgpr
v_or_b32 v[vgprValuB_X1_I0+5], v[vgprValuB_X1_I0+5], v79 // pack two half Vgpr to one Vgpr
v_or_b32 v[vgprValuB_X1_I0+6], v[vgprValuB_X1_I0+6], v80 // pack two half Vgpr to one Vgpr
v_or_b32 v[vgprValuB_X1_I0+7], v[vgprValuB_X1_I0+7], v81 // pack two half Vgpr to one Vgpr
v_mfma_f32_16x16x16f16 a[4+0:7+0], v[vgprValuA_X1_I0+0+0+0:vgprValuA_X1_I0+0+0+0+1], v[vgprValuB_X1_I0+2+0+0:vgprValuB_X1_I0+2+0+0+1], a[4:7]
/*  mfmaIndex:11  */
/* localReadsVacancy: latencyLeft 5 */
/* pack scheduling: packAIdx:2, packBIdx:6 */
	;; [unrolled: 8-line block ×4, first 2 shown]
v_or_b32 v[vgprValuB_X1_I0+16], v[vgprValuB_X1_I0+16], v90 // pack two half Vgpr to one Vgpr
v_or_b32 v[vgprValuB_X1_I0+17], v[vgprValuB_X1_I0+17], v91 // pack two half Vgpr to one Vgpr
v_mfma_f32_16x16x16f16 a[16+0:19+0], v[vgprValuA_X1_I0+0+0+0:vgprValuA_X1_I0+0+0+0+1], v[vgprValuB_X1_I0+8+0+0:vgprValuB_X1_I0+8+0+0+1], a[16:19]
/*  mfmaIndex:14  */
/* localReadsVacancy: latencyLeft 5 */
v_mfma_f32_16x16x16f16 a[20+0:23+0], v[vgprValuA_X1_I0+0+0+0:vgprValuA_X1_I0+0+0+0+1], v[vgprValuB_X1_I0+10+0+0:vgprValuB_X1_I0+10+0+0+1], a[20:23]
/*  mfmaIndex:15  */
/* localReadsVacancy: latencyLeft 5 */
	;; [unrolled: 3-line block ×4, first 2 shown]
v_mfma_f32_16x16x16f16 a[32+0:35+0], v[vgprValuA_X1_I0+0+0+0:vgprValuA_X1_I0+0+0+0+1], v[vgprValuB_X1_I0+16+0+0:vgprValuB_X1_I0+16+0+0+1], a[32:35]
/* numPrefetchIter=0 */
/* dataAtIterA=1 numReadsIterA=2 skipReadsIterA=0 readsPerIterA=4 */
/* dataAtIterB=1 numReadsIterB=2 skipReadsIterB=0 readsPerIterB=36 */

/* Stores for OptNLL */
Summation_End_OptNLL_16:
/* endSummation: add vgpr [0...69) to pool */
.set NumFullBlocks, UNDEF
.set WgmRemainder1, UNDEF
.set MagicNumberWgmRemainder1, UNDEF

/* Mapping of Acc register -> C Vgpr register */
/* computeStoreVgprs */
v_lshrrev_b32 v4, 6, v[vgprSerial]                 // v4 = v[vgprSerial] / 64
v_lshrrev_b32 v1, 2, v4                            // v1 = v4 / 4
v_mul_lo_u32 v1, 0x10, v1                          // wave coordination offset 1
v_and_b32 v5, 15, v[vgprSerial]                    // v5 = v[vgprSerial] % 16
_v_add_lshl_u32 v1, v5, v1, 0                      // coordination 1 = vwb *(wave_id1 + tid1)
v_mul_lo_u32 v2, v1, s[sgprStrideC1J]              //  offset 1
v_mul_lo_u32 v3, v1, s[sgprStrideD1J]              //  offset 1
v_and_b32 v0, 63, v[vgprSerial]                    // v0 = v[vgprSerial] % 64
v_lshrrev_b32 v0, 4, v0                            // v0 = v0 / 16
v_lshlrev_b32 v0, 0x2, v0                          // thread0 * continuous_output
v_and_b32 v5, 3, v4                                // v5 = v4 % 4
v_mul_lo_u32 v5, 0x10, v5                          // wave coordination offset 0
_v_add_lshl_u32 v0, v5, v0, 0                      // coordination 0 = vwa *(wave_id0 + tid0)
s_mul_i32 s53, 64, s[sgprWorkGroup0]               // wgp0 * MT0
_v_add_u32 v0, s53, v0                             // coord 0 = (tid0/MI_m)*4 + waveG0*MIB_m + MT0*SG0
s_mul_i32 s53, 144, s[sgprWorkGroup1]              // wgp1 * MT1
_v_add_u32 v1, s53, v1                             // coord 1 = (tid0%MI_m) + waveG1*MIB_n + MT1*SG1
/* Store Remap Local Write address */
v_lshrrev_b32 v5, 8, v[vgprSerial]                 // v5 = v[vgprSerial] / 256
v_and_b32 v4, 255, v[vgprSerial]                   // v4 = v[vgprSerial] % 256
v_mul_lo_u32 v13, 0x10, v5                         // coord1 offset of LDS for each Wave
v_and_b32 v5, 0xf, v[vgprSerial]                   // coord1 offset of LDS for each thread
_v_add_u32 v5, v13, v5                             // coord1 offset in MacroTile
v_mov_b32 v11, 0x44                                // lds stride = MT0 + PAD
v_mul_lo_u32 v9, v5, v11                           // lds coord1 offset = Col-id* lds stride
v_lshrrev_b32 v10, 6, v4                           // v10 = v4 / 64
v_and_b32 v4, 63, v4                               // v4 = v4 % 64
v_lshrrev_b32 v12, 0x4, v4                         // tid / matrixInstN
v_lshlrev_b32 v12, 0x2, v12                        // lds coord0 offset *= 4 (each thread hold 4 element)
v_mad_u32_u24 v12, 16, v10, v12                    // coord0 += waveCoord0 * wave M shape(blockM*MiM)
_v_add_lshl_u32 v7, v9, v12, 0x1                   // local write C address

/* Store Remap Local Read address */
v_lshrrev_b32 v5, 6, v[vgprSerial]                 // v5 = v[vgprSerial] / 64
v_and_b32 v4, 63, v[vgprSerial]                    // v4 = v[vgprSerial] % 64
v_mul_lo_u32 v13, 0x4, v5                          // coord1 offset of LDS for each Wave
v_lshrrev_b32 v10, 0x4, v4                         // tid / nThreadPerCol
_v_add_u32 v6, v13, v10                            // coord1 offset in MacroTile
v_mul_lo_u32 v9, v6, v11                           // lds coord1 offset = Col-id* lds stride
v_and_b32 v12, 0xf, v4                             // coord0 offset of LDS for each thread
v_lshlrev_b32 v12, 0x2, v12                        // lds coord0 offset *= gwvw (each thread hold gwvw element)
_v_add_lshl_u32 v8, v9, v12, 0x1                   // local read C address

/* Store Remap global write coord0 and coord1 */
v_lshrrev_b32 v5, 8, v[vgprSerial]                 // v5 = v[vgprSerial] / 256
v_and_b32 v4, 255, v[vgprSerial]                   // v4 = v[vgprSerial] % 256
v_mul_lo_u32 v13, 0x10, v5                         // coord1 offset of global memory for each Wave
v_lshrrev_b32 v5, 6, v4                            // v5 = v4 / 64
v_and_b32 v4, 63, v4                               // v4 = v4 % 64
v_mad_u32_u24 v13, 4, v5, v13                      // waveCoord1 += waveCoord0 * MiN / WaveGroupM
v_lshrrev_b32 v10, 0x4, v4                         // tid / nThreadPerCol
_v_add_u32 v6, v13, v10                            // coord1 offset in MacroTile
s_mul_i32 s54, 0x40, s[sgprWorkGroup0]             // s54 = wg0*MT0
_v_add_co_u32 v4, vcc, s54, v12                    // coord0 = coord0 + wg0 * MT0
s_mul_i32 s55, MT1, s[sgprWorkGroup1]              // <- wg1*MT1
_v_add_co_u32 v5, vcc, s55, v6                     // coord1 = tid1*VW + wg1*MT1

s_waitcnt lgkmcnt(0) & vmcnt(0)                    // force waitcnt0
s_barrier //StoreRemap Start
GW_B0_E0_19:

/* edge=0, allocate 2 sgpr. perBatchTmpS=2 perBatchMaskS=0 perElementMaskS=0 elementsPerBatch=1 */
/* optSingleColVgpr=1 optSharedColVgpr=0 optSGPRUsage=BufferLoad_Mask optSrdIncForRow=1 */

/******************************************/
/* Global Write Batch #0 (d1,d0,vc1,vc0) = */
/*    (0,0,0,0:vw4)                       */
/******************************************/

/* calc coords, apply mask, and issue loads (if necessary) */
/* (d1,vc1,d0,vc0)=(0,0,0,0) */
_v_add_lshl_u32 v9, v3, v0, 0x1                    // optSingleColVgpr scaleToBpe: sharedAddrVgpr <- cinRowPtr + coord0, scaled by BPE. BSHERE:coord0=0, coord0Vgpr=0
v_accvgpr_read_b32 v[vgprValuC+16], acc0 // copy acc to vreg[0]
v_accvgpr_read_b32 v[vgprValuC+17], acc1 // copy acc to vreg[1]
v_accvgpr_read_b32 v[vgprValuC+18], acc2 // copy acc to vreg[2]
v_accvgpr_read_b32 v[vgprValuC+19], acc3 // copy acc to vreg[3]
s_nop 1                                            // 2 wait states required before reading vgpr

/* apply mask, calc new C and issue writes */
v_cvt_f16_f32 v[vgprValuC+16], v[vgprValuC+16]     // convert C to fp16
v_cvt_f16_f32 v[vgprValuC+17], v[vgprValuC+17]     // convert C to fp16
v_pack_b32_f16 v16, v[vgprValuC+16], v[vgprValuC+17] // Pack with neighbor
v_cvt_f16_f32 v[vgprValuC+18], v[vgprValuC+18]     // convert C to fp16
v_cvt_f16_f32 v[vgprValuC+19], v[vgprValuC+19]     // convert C to fp16
v_pack_b32_f16 v17, v[vgprValuC+18], v[vgprValuC+19] // Pack with neighbor
_ds_store_b64 v7, v[16:17], offset:0               // storeRemap lw

/* Handle local read and global write */
s_waitcnt lgkmcnt(0)                               // wait for LDS write
s_barrier //wait all lds write finished

_ds_load_b64 v[14:15], v8, offset:0                // storeRemap lr

v_mov_b32 v13, v6                                  // coord1
v_mul_lo_u32 v13, v13, s[sgprStrideD1J]            // coord1 offset =  coord1 * StrideD
_v_add_lshl_u32 v13, v13, v4, 0x1                  // global write D address
s_waitcnt lgkmcnt(0)                               // wait for LDS read
_buffer_store_b64 v[14:15], v13, s[sgprSrdD:sgprSrdD+3], 0, offen, offset:0 // store D

s_barrier //wait all lds read finished
s_nop 0                                            // 1 wait state required when next inst writes vgprs held by previous dwordx4 store inst
/* optSingleColVgpr=1 optSharedColVgpr=0 optSGPRUsage=BufferLoad_Mask optSrdIncForRow=1 */

/******************************************/
/* Global Write Batch #1 (d1,d0,vc1,vc0) = */
/*    (1,0,0,0:vw4)                       */
/******************************************/

/* calc coords, apply mask, and issue loads (if necessary) */
/* (d1,vc1,d0,vc0)=(1,0,0,0) */
v_accvgpr_read_b32 v[vgprValuC+16], acc4 // copy acc to vreg[4]
v_accvgpr_read_b32 v[vgprValuC+17], acc5 // copy acc to vreg[5]
v_accvgpr_read_b32 v[vgprValuC+18], acc6 // copy acc to vreg[6]
v_accvgpr_read_b32 v[vgprValuC+19], acc7 // copy acc to vreg[7]
s_nop 1                                            // 2 wait states required before reading vgpr

/* apply mask, calc new C and issue writes */

/* StoreRemap: shift coord1 address */
s_mul_i32 s54, s[sgprStrideD1J], 32                // scale StrideD *= numRows(16) * bpe
s_add_u32  s[sgprSrdD+0], s[sgprSrdD+0], s54       // incToNextRow: gra SRD += inc(lower)
s_addc_u32  s[sgprSrdD+1], s[sgprSrdD+1], 0        // incToNextRow: gra SRD += inc(upper)
v_mov_b32 v10, 16                                  // set shift rows
_v_add_u32 v5, v5, v10                             // shift storeRemap coord1
v_cvt_f16_f32 v[vgprValuC+16], v[vgprValuC+16]     // convert C to fp16
v_cvt_f16_f32 v[vgprValuC+17], v[vgprValuC+17]     // convert C to fp16
v_pack_b32_f16 v16, v[vgprValuC+16], v[vgprValuC+17] // Pack with neighbor
v_cvt_f16_f32 v[vgprValuC+18], v[vgprValuC+18]     // convert C to fp16
v_cvt_f16_f32 v[vgprValuC+19], v[vgprValuC+19]     // convert C to fp16
v_pack_b32_f16 v17, v[vgprValuC+18], v[vgprValuC+19] // Pack with neighbor
_ds_store_b64 v7, v[16:17], offset:0               // storeRemap lw

/* Handle local read and global write */
s_waitcnt lgkmcnt(0)                               // wait for LDS write
s_barrier //wait all lds write finished

_ds_load_b64 v[14:15], v8, offset:0                // storeRemap lr

v_mov_b32 v13, v6                                  // coord1
v_mul_lo_u32 v13, v13, s[sgprStrideD1J]            // coord1 offset =  coord1 * StrideD
_v_add_lshl_u32 v13, v13, v4, 0x1                  // global write D address
s_waitcnt lgkmcnt(0)                               // wait for LDS read
_buffer_store_b64 v[14:15], v13, s[sgprSrdD:sgprSrdD+3], 0, offen, offset:0 // store D

s_barrier //wait all lds read finished
s_nop 0                                            // 1 wait state required when next inst writes vgprs held by previous dwordx4 store inst
/* optSingleColVgpr=1 optSharedColVgpr=0 optSGPRUsage=BufferLoad_Mask optSrdIncForRow=1 */

/******************************************/
/* Global Write Batch #2 (d1,d0,vc1,vc0) = */
/*    (2,0,0,0:vw4)                       */
/******************************************/

/* calc coords, apply mask, and issue loads (if necessary) */
/* (d1,vc1,d0,vc0)=(2,0,0,0) */
v_accvgpr_read_b32 v[vgprValuC+16], acc8 // copy acc to vreg[8]
v_accvgpr_read_b32 v[vgprValuC+17], acc9 // copy acc to vreg[9]
v_accvgpr_read_b32 v[vgprValuC+18], acc10 // copy acc to vreg[10]
v_accvgpr_read_b32 v[vgprValuC+19], acc11 // copy acc to vreg[11]
s_nop 1                                            // 2 wait states required before reading vgpr

/* apply mask, calc new C and issue writes */

/* StoreRemap: shift coord1 address */
s_mul_i32 s54, s[sgprStrideD1J], 32                // scale StrideD *= numRows(16) * bpe
s_add_u32  s[sgprSrdD+0], s[sgprSrdD+0], s54       // incToNextRow: gra SRD += inc(lower)
s_addc_u32  s[sgprSrdD+1], s[sgprSrdD+1], 0        // incToNextRow: gra SRD += inc(upper)
v_mov_b32 v10, 16                                  // set shift rows
_v_add_u32 v5, v5, v10                             // shift storeRemap coord1
v_cvt_f16_f32 v[vgprValuC+16], v[vgprValuC+16]     // convert C to fp16
v_cvt_f16_f32 v[vgprValuC+17], v[vgprValuC+17]     // convert C to fp16
v_pack_b32_f16 v16, v[vgprValuC+16], v[vgprValuC+17] // Pack with neighbor
v_cvt_f16_f32 v[vgprValuC+18], v[vgprValuC+18]     // convert C to fp16
v_cvt_f16_f32 v[vgprValuC+19], v[vgprValuC+19]     // convert C to fp16
v_pack_b32_f16 v17, v[vgprValuC+18], v[vgprValuC+19] // Pack with neighbor
_ds_store_b64 v7, v[16:17], offset:0               // storeRemap lw

/* Handle local read and global write */
s_waitcnt lgkmcnt(0)                               // wait for LDS write
s_barrier //wait all lds write finished

_ds_load_b64 v[14:15], v8, offset:0                // storeRemap lr

v_mov_b32 v13, v6                                  // coord1
v_mul_lo_u32 v13, v13, s[sgprStrideD1J]            // coord1 offset =  coord1 * StrideD
_v_add_lshl_u32 v13, v13, v4, 0x1                  // global write D address
s_waitcnt lgkmcnt(0)                               // wait for LDS read
_buffer_store_b64 v[14:15], v13, s[sgprSrdD:sgprSrdD+3], 0, offen, offset:0 // store D

s_barrier //wait all lds read finished
s_nop 0                                            // 1 wait state required when next inst writes vgprs held by previous dwordx4 store inst
/* optSingleColVgpr=1 optSharedColVgpr=0 optSGPRUsage=BufferLoad_Mask optSrdIncForRow=1 */

/******************************************/
/* Global Write Batch #3 (d1,d0,vc1,vc0) = */
/*    (3,0,0,0:vw4)                       */
/******************************************/

/* calc coords, apply mask, and issue loads (if necessary) */
/* (d1,vc1,d0,vc0)=(3,0,0,0) */
v_accvgpr_read_b32 v[vgprValuC+16], acc12 // copy acc to vreg[12]
v_accvgpr_read_b32 v[vgprValuC+17], acc13 // copy acc to vreg[13]
v_accvgpr_read_b32 v[vgprValuC+18], acc14 // copy acc to vreg[14]
v_accvgpr_read_b32 v[vgprValuC+19], acc15 // copy acc to vreg[15]
s_nop 1                                            // 2 wait states required before reading vgpr

/* apply mask, calc new C and issue writes */

/* StoreRemap: shift coord1 address */
s_mul_i32 s54, s[sgprStrideD1J], 32                // scale StrideD *= numRows(16) * bpe
s_add_u32  s[sgprSrdD+0], s[sgprSrdD+0], s54       // incToNextRow: gra SRD += inc(lower)
s_addc_u32  s[sgprSrdD+1], s[sgprSrdD+1], 0        // incToNextRow: gra SRD += inc(upper)
v_mov_b32 v10, 16                                  // set shift rows
_v_add_u32 v5, v5, v10                             // shift storeRemap coord1
v_cvt_f16_f32 v[vgprValuC+16], v[vgprValuC+16]     // convert C to fp16
v_cvt_f16_f32 v[vgprValuC+17], v[vgprValuC+17]     // convert C to fp16
v_pack_b32_f16 v16, v[vgprValuC+16], v[vgprValuC+17] // Pack with neighbor
v_cvt_f16_f32 v[vgprValuC+18], v[vgprValuC+18]     // convert C to fp16
v_cvt_f16_f32 v[vgprValuC+19], v[vgprValuC+19]     // convert C to fp16
v_pack_b32_f16 v17, v[vgprValuC+18], v[vgprValuC+19] // Pack with neighbor
_ds_store_b64 v7, v[16:17], offset:0               // storeRemap lw

/* Handle local read and global write */
s_waitcnt lgkmcnt(0)                               // wait for LDS write
s_barrier //wait all lds write finished

_ds_load_b64 v[14:15], v8, offset:0                // storeRemap lr

v_mov_b32 v13, v6                                  // coord1
v_mul_lo_u32 v13, v13, s[sgprStrideD1J]            // coord1 offset =  coord1 * StrideD
_v_add_lshl_u32 v13, v13, v4, 0x1                  // global write D address
s_waitcnt lgkmcnt(0)                               // wait for LDS read
_buffer_store_b64 v[14:15], v13, s[sgprSrdD:sgprSrdD+3], 0, offen, offset:0 // store D

s_barrier //wait all lds read finished
s_nop 0                                            // 1 wait state required when next inst writes vgprs held by previous dwordx4 store inst
/* optSingleColVgpr=1 optSharedColVgpr=0 optSGPRUsage=BufferLoad_Mask optSrdIncForRow=1 */

/******************************************/
/* Global Write Batch #4 (d1,d0,vc1,vc0) = */
/*    (4,0,0,0:vw4)                       */
/******************************************/

/* calc coords, apply mask, and issue loads (if necessary) */
/* (d1,vc1,d0,vc0)=(4,0,0,0) */
v_accvgpr_read_b32 v[vgprValuC+16], acc16 // copy acc to vreg[16]
v_accvgpr_read_b32 v[vgprValuC+17], acc17 // copy acc to vreg[17]
v_accvgpr_read_b32 v[vgprValuC+18], acc18 // copy acc to vreg[18]
v_accvgpr_read_b32 v[vgprValuC+19], acc19 // copy acc to vreg[19]
s_nop 1                                            // 2 wait states required before reading vgpr

/* apply mask, calc new C and issue writes */

/* StoreRemap: shift coord1 address */
s_mul_i32 s54, s[sgprStrideD1J], 32                // scale StrideD *= numRows(16) * bpe
s_add_u32  s[sgprSrdD+0], s[sgprSrdD+0], s54       // incToNextRow: gra SRD += inc(lower)
s_addc_u32  s[sgprSrdD+1], s[sgprSrdD+1], 0        // incToNextRow: gra SRD += inc(upper)
v_mov_b32 v10, 16                                  // set shift rows
_v_add_u32 v5, v5, v10                             // shift storeRemap coord1
v_cvt_f16_f32 v[vgprValuC+16], v[vgprValuC+16]     // convert C to fp16
v_cvt_f16_f32 v[vgprValuC+17], v[vgprValuC+17]     // convert C to fp16
v_pack_b32_f16 v16, v[vgprValuC+16], v[vgprValuC+17] // Pack with neighbor
v_cvt_f16_f32 v[vgprValuC+18], v[vgprValuC+18]     // convert C to fp16
v_cvt_f16_f32 v[vgprValuC+19], v[vgprValuC+19]     // convert C to fp16
v_pack_b32_f16 v17, v[vgprValuC+18], v[vgprValuC+19] // Pack with neighbor
_ds_store_b64 v7, v[16:17], offset:0               // storeRemap lw

/* Handle local read and global write */
s_waitcnt lgkmcnt(0)                               // wait for LDS write
s_barrier //wait all lds write finished

_ds_load_b64 v[14:15], v8, offset:0                // storeRemap lr

v_mov_b32 v13, v6                                  // coord1
v_mul_lo_u32 v13, v13, s[sgprStrideD1J]            // coord1 offset =  coord1 * StrideD
_v_add_lshl_u32 v13, v13, v4, 0x1                  // global write D address
s_waitcnt lgkmcnt(0)                               // wait for LDS read
_buffer_store_b64 v[14:15], v13, s[sgprSrdD:sgprSrdD+3], 0, offen, offset:0 // store D

s_barrier //wait all lds read finished
s_nop 0                                            // 1 wait state required when next inst writes vgprs held by previous dwordx4 store inst
/* optSingleColVgpr=1 optSharedColVgpr=0 optSGPRUsage=BufferLoad_Mask optSrdIncForRow=1 */

/******************************************/
/* Global Write Batch #5 (d1,d0,vc1,vc0) = */
/*    (5,0,0,0:vw4)                       */
/******************************************/

/* calc coords, apply mask, and issue loads (if necessary) */
/* (d1,vc1,d0,vc0)=(5,0,0,0) */
v_accvgpr_read_b32 v[vgprValuC+16], acc20 // copy acc to vreg[20]
v_accvgpr_read_b32 v[vgprValuC+17], acc21 // copy acc to vreg[21]
v_accvgpr_read_b32 v[vgprValuC+18], acc22 // copy acc to vreg[22]
v_accvgpr_read_b32 v[vgprValuC+19], acc23 // copy acc to vreg[23]
s_nop 1                                            // 2 wait states required before reading vgpr

/* apply mask, calc new C and issue writes */

/* StoreRemap: shift coord1 address */
s_mul_i32 s54, s[sgprStrideD1J], 32                // scale StrideD *= numRows(16) * bpe
s_add_u32  s[sgprSrdD+0], s[sgprSrdD+0], s54       // incToNextRow: gra SRD += inc(lower)
s_addc_u32  s[sgprSrdD+1], s[sgprSrdD+1], 0        // incToNextRow: gra SRD += inc(upper)
v_mov_b32 v10, 16                                  // set shift rows
_v_add_u32 v5, v5, v10                             // shift storeRemap coord1
v_cvt_f16_f32 v[vgprValuC+16], v[vgprValuC+16]     // convert C to fp16
v_cvt_f16_f32 v[vgprValuC+17], v[vgprValuC+17]     // convert C to fp16
v_pack_b32_f16 v16, v[vgprValuC+16], v[vgprValuC+17] // Pack with neighbor
v_cvt_f16_f32 v[vgprValuC+18], v[vgprValuC+18]     // convert C to fp16
v_cvt_f16_f32 v[vgprValuC+19], v[vgprValuC+19]     // convert C to fp16
v_pack_b32_f16 v17, v[vgprValuC+18], v[vgprValuC+19] // Pack with neighbor
_ds_store_b64 v7, v[16:17], offset:0               // storeRemap lw

/* Handle local read and global write */
s_waitcnt lgkmcnt(0)                               // wait for LDS write
s_barrier //wait all lds write finished

_ds_load_b64 v[14:15], v8, offset:0                // storeRemap lr

v_mov_b32 v13, v6                                  // coord1
v_mul_lo_u32 v13, v13, s[sgprStrideD1J]            // coord1 offset =  coord1 * StrideD
_v_add_lshl_u32 v13, v13, v4, 0x1                  // global write D address
s_waitcnt lgkmcnt(0)                               // wait for LDS read
_buffer_store_b64 v[14:15], v13, s[sgprSrdD:sgprSrdD+3], 0, offen, offset:0 // store D

s_barrier //wait all lds read finished
s_nop 0                                            // 1 wait state required when next inst writes vgprs held by previous dwordx4 store inst
/* optSingleColVgpr=1 optSharedColVgpr=0 optSGPRUsage=BufferLoad_Mask optSrdIncForRow=1 */

/******************************************/
/* Global Write Batch #6 (d1,d0,vc1,vc0) = */
/*    (6,0,0,0:vw4)                       */
/******************************************/

/* calc coords, apply mask, and issue loads (if necessary) */
/* (d1,vc1,d0,vc0)=(6,0,0,0) */
v_accvgpr_read_b32 v[vgprValuC+16], acc24 // copy acc to vreg[24]
v_accvgpr_read_b32 v[vgprValuC+17], acc25 // copy acc to vreg[25]
v_accvgpr_read_b32 v[vgprValuC+18], acc26 // copy acc to vreg[26]
v_accvgpr_read_b32 v[vgprValuC+19], acc27 // copy acc to vreg[27]
s_nop 1                                            // 2 wait states required before reading vgpr

/* apply mask, calc new C and issue writes */

/* StoreRemap: shift coord1 address */
s_mul_i32 s54, s[sgprStrideD1J], 32                // scale StrideD *= numRows(16) * bpe
s_add_u32  s[sgprSrdD+0], s[sgprSrdD+0], s54       // incToNextRow: gra SRD += inc(lower)
s_addc_u32  s[sgprSrdD+1], s[sgprSrdD+1], 0        // incToNextRow: gra SRD += inc(upper)
v_mov_b32 v10, 16                                  // set shift rows
_v_add_u32 v5, v5, v10                             // shift storeRemap coord1
v_cvt_f16_f32 v[vgprValuC+16], v[vgprValuC+16]     // convert C to fp16
v_cvt_f16_f32 v[vgprValuC+17], v[vgprValuC+17]     // convert C to fp16
v_pack_b32_f16 v16, v[vgprValuC+16], v[vgprValuC+17] // Pack with neighbor
v_cvt_f16_f32 v[vgprValuC+18], v[vgprValuC+18]     // convert C to fp16
v_cvt_f16_f32 v[vgprValuC+19], v[vgprValuC+19]     // convert C to fp16
v_pack_b32_f16 v17, v[vgprValuC+18], v[vgprValuC+19] // Pack with neighbor
_ds_store_b64 v7, v[16:17], offset:0               // storeRemap lw

/* Handle local read and global write */
s_waitcnt lgkmcnt(0)                               // wait for LDS write
s_barrier //wait all lds write finished

_ds_load_b64 v[14:15], v8, offset:0                // storeRemap lr

v_mov_b32 v13, v6                                  // coord1
v_mul_lo_u32 v13, v13, s[sgprStrideD1J]            // coord1 offset =  coord1 * StrideD
_v_add_lshl_u32 v13, v13, v4, 0x1                  // global write D address
s_waitcnt lgkmcnt(0)                               // wait for LDS read
_buffer_store_b64 v[14:15], v13, s[sgprSrdD:sgprSrdD+3], 0, offen, offset:0 // store D

s_barrier //wait all lds read finished
s_nop 0                                            // 1 wait state required when next inst writes vgprs held by previous dwordx4 store inst
/* optSingleColVgpr=1 optSharedColVgpr=0 optSGPRUsage=BufferLoad_Mask optSrdIncForRow=1 */

/******************************************/
/* Global Write Batch #7 (d1,d0,vc1,vc0) = */
/*    (7,0,0,0:vw4)                       */
/******************************************/

/* calc coords, apply mask, and issue loads (if necessary) */
/* (d1,vc1,d0,vc0)=(7,0,0,0) */
v_accvgpr_read_b32 v[vgprValuC+16], acc28 // copy acc to vreg[28]
v_accvgpr_read_b32 v[vgprValuC+17], acc29 // copy acc to vreg[29]
v_accvgpr_read_b32 v[vgprValuC+18], acc30 // copy acc to vreg[30]
v_accvgpr_read_b32 v[vgprValuC+19], acc31 // copy acc to vreg[31]
s_nop 1                                            // 2 wait states required before reading vgpr

/* apply mask, calc new C and issue writes */

/* StoreRemap: shift coord1 address */
s_mul_i32 s54, s[sgprStrideD1J], 32                // scale StrideD *= numRows(16) * bpe
s_add_u32  s[sgprSrdD+0], s[sgprSrdD+0], s54       // incToNextRow: gra SRD += inc(lower)
s_addc_u32  s[sgprSrdD+1], s[sgprSrdD+1], 0        // incToNextRow: gra SRD += inc(upper)
v_mov_b32 v10, 16                                  // set shift rows
_v_add_u32 v5, v5, v10                             // shift storeRemap coord1
v_cvt_f16_f32 v[vgprValuC+16], v[vgprValuC+16]     // convert C to fp16
v_cvt_f16_f32 v[vgprValuC+17], v[vgprValuC+17]     // convert C to fp16
v_pack_b32_f16 v16, v[vgprValuC+16], v[vgprValuC+17] // Pack with neighbor
v_cvt_f16_f32 v[vgprValuC+18], v[vgprValuC+18]     // convert C to fp16
v_cvt_f16_f32 v[vgprValuC+19], v[vgprValuC+19]     // convert C to fp16
v_pack_b32_f16 v17, v[vgprValuC+18], v[vgprValuC+19] // Pack with neighbor
_ds_store_b64 v7, v[16:17], offset:0               // storeRemap lw

/* Handle local read and global write */
s_waitcnt lgkmcnt(0)                               // wait for LDS write
s_barrier //wait all lds write finished

_ds_load_b64 v[14:15], v8, offset:0                // storeRemap lr

v_mov_b32 v13, v6                                  // coord1
v_mul_lo_u32 v13, v13, s[sgprStrideD1J]            // coord1 offset =  coord1 * StrideD
_v_add_lshl_u32 v13, v13, v4, 0x1                  // global write D address
s_waitcnt lgkmcnt(0)                               // wait for LDS read
_buffer_store_b64 v[14:15], v13, s[sgprSrdD:sgprSrdD+3], 0, offen, offset:0 // store D

s_barrier //wait all lds read finished
s_nop 0                                            // 1 wait state required when next inst writes vgprs held by previous dwordx4 store inst
/* optSingleColVgpr=1 optSharedColVgpr=0 optSGPRUsage=BufferLoad_Mask optSrdIncForRow=1 */

/******************************************/
/* Global Write Batch #8 (d1,d0,vc1,vc0) = */
/*    (8,0,0,0:vw4)                       */
/******************************************/

/* calc coords, apply mask, and issue loads (if necessary) */
/* (d1,vc1,d0,vc0)=(8,0,0,0) */
v_accvgpr_read_b32 v[vgprValuC+16], acc32 // copy acc to vreg[32]
v_accvgpr_read_b32 v[vgprValuC+17], acc33 // copy acc to vreg[33]
v_accvgpr_read_b32 v[vgprValuC+18], acc34 // copy acc to vreg[34]
v_accvgpr_read_b32 v[vgprValuC+19], acc35 // copy acc to vreg[35]
s_nop 1                                            // 2 wait states required before reading vgpr

/* apply mask, calc new C and issue writes */

/* StoreRemap: shift coord1 address */
s_mul_i32 s54, s[sgprStrideD1J], 32                // scale StrideD *= numRows(16) * bpe
s_add_u32  s[sgprSrdD+0], s[sgprSrdD+0], s54       // incToNextRow: gra SRD += inc(lower)
s_addc_u32  s[sgprSrdD+1], s[sgprSrdD+1], 0        // incToNextRow: gra SRD += inc(upper)
v_mov_b32 v10, 16                                  // set shift rows
_v_add_u32 v5, v5, v10                             // shift storeRemap coord1
v_cvt_f16_f32 v[vgprValuC+16], v[vgprValuC+16]     // convert C to fp16
v_cvt_f16_f32 v[vgprValuC+17], v[vgprValuC+17]     // convert C to fp16
v_pack_b32_f16 v16, v[vgprValuC+16], v[vgprValuC+17] // Pack with neighbor
v_cvt_f16_f32 v[vgprValuC+18], v[vgprValuC+18]     // convert C to fp16
v_cvt_f16_f32 v[vgprValuC+19], v[vgprValuC+19]     // convert C to fp16
v_pack_b32_f16 v17, v[vgprValuC+18], v[vgprValuC+19] // Pack with neighbor
_ds_store_b64 v7, v[16:17], offset:0               // storeRemap lw

/* Handle local read and global write */
s_waitcnt lgkmcnt(0)                               // wait for LDS write
s_barrier //wait all lds write finished

_ds_load_b64 v[14:15], v8, offset:0                // storeRemap lr

v_mov_b32 v13, v6                                  // coord1
v_mul_lo_u32 v13, v13, s[sgprStrideD1J]            // coord1 offset =  coord1 * StrideD
_v_add_lshl_u32 v13, v13, v4, 0x1                  // global write D address
s_waitcnt lgkmcnt(0)                               // wait for LDS read
_buffer_store_b64 v[14:15], v13, s[sgprSrdD:sgprSrdD+3], 0, offen, offset:0 // store D

s_barrier //wait all lds read finished
s_nop 0                                            // 1 wait state required when next inst writes vgprs held by previous dwordx4 store inst
s_branch label_GW_End_21                           // jump to end
label_GW_End_21:

s_endpgm                                           // Kernel End
OptNLL_End_15:


/******************************************/
/* Ord. NoLoadLoop - Begin                                      */
/******************************************/


s_waitcnt lgkmcnt(0)                               // lgkmcnt=0 vmcnt=-14wait for local write

s_waitcnt lgkmcnt(0) & vmcnt(0)                    // force waitcnt0
s_barrier //



/* iter 0 (last unrolled loop) */

/*  grEndMfmaIndex:0, lwStartMfmaIndex:17, lwEndMfmaIndex:17  */
/*  numMfmaForLR:8, barrierMfmaIndex:0 */
/*  mfmaIndex:0  */
_ds_load_u16 v[vgprValuA_X0_I0+0], v[vgprLocalReadAddrA] offset:0 // L -> Reg lro=0 swapByteOffset=0 ti=64 vIdx=0 rIdx=0 oIdx=0 buffer=0 iui=0
_ds_load_u16_d16_hi v72, v[vgprLocalReadAddrA] offset:128 // L -> Reg lro=0 swapByteOffset=0 ti=64 vIdx=0 rIdx=1 oIdx=0 buffer=0 iui=0
_ds_load_u16 v[vgprValuA_X0_I0+1], v[vgprLocalReadAddrA] offset:256 // L -> Reg lro=0 swapByteOffset=0 ti=64 vIdx=0 rIdx=2 oIdx=0 buffer=0 iui=0
_ds_load_u16_d16_hi v73, v[vgprLocalReadAddrA] offset:384 // L -> Reg lro=0 swapByteOffset=0 ti=64 vIdx=0 rIdx=3 oIdx=0 buffer=0 iui=0
_ds_load_u16 v[vgprValuB_X0_I0+0], v[vgprLocalReadAddrB] offset:0 // L -> Reg lro=0 swapByteOffset=0 ti=16 vIdx=0 rIdx=0 oIdx=0 buffer=0 iui=0
_ds_load_u16_d16_hi v74, v[vgprLocalReadAddrB] offset:288 // L -> Reg lro=0 swapByteOffset=0 ti=16 vIdx=0 rIdx=1 oIdx=0 buffer=0 iui=0
_ds_load_u16 v[vgprValuB_X0_I0+1], v[vgprLocalReadAddrB] offset:576 // L -> Reg lro=0 swapByteOffset=0 ti=16 vIdx=0 rIdx=2 oIdx=0 buffer=0 iui=0
_ds_load_u16_d16_hi v75, v[vgprLocalReadAddrB] offset:864 // L -> Reg lro=0 swapByteOffset=0 ti=16 vIdx=0 rIdx=3 oIdx=0 buffer=0 iui=0
	;; [unrolled: 2-line block ×18, first 2 shown]
s_waitcnt lgkmcnt(0)                               // lgkmcnt=0 vmcnt=-1wait for prior local read local write old=0, new=0 newLW=0 newLR=0
/* pack scheduling: packAIdx:2, packBIdx:2 */
v_or_b32 v[vgprValuA_X0_I0+0], v[vgprValuA_X0_I0+0], v72 // pack two half Vgpr to one Vgpr
v_or_b32 v[vgprValuA_X0_I0+1], v[vgprValuA_X0_I0+1], v73 // pack two half Vgpr to one Vgpr
v_or_b32 v[vgprValuB_X0_I0+0], v[vgprValuB_X0_I0+0], v74 // pack two half Vgpr to one Vgpr
v_or_b32 v[vgprValuB_X0_I0+1], v[vgprValuB_X0_I0+1], v75 // pack two half Vgpr to one Vgpr
	;; [unrolled: 1-line block ×4, first 2 shown]
v_mfma_f32_16x16x16f16 a[0+0:3+0], v[vgprValuA_X0_I0+0+0+0:vgprValuA_X0_I0+0+0+0+1], v[vgprValuB_X0_I0+0+0+0:vgprValuB_X0_I0+0+0+0+1], a[0:3]
/*  mfmaIndex:1  */
/* localReadsVacancy: latencyLeft 5 */
_ds_load_u16 v[vgprValuA_X1_I0+0], v[vgprLocalReadAddrA] offset:2048 // L -> Reg lro=1024 swapByteOffset=0 ti=64 vIdx=0 rIdx=0 oIdx=0 buffer=1 iui=0
_ds_load_u16 v[vgprValuA_X1_I0+1], v[vgprLocalReadAddrA] offset:2304 // L -> Reg lro=1024 swapByteOffset=0 ti=64 vIdx=0 rIdx=2 oIdx=0 buffer=1 iui=0
/* pack scheduling: packAIdx:2, packBIdx:4 */
v_or_b32 v[vgprValuB_X0_I0+4], v[vgprValuB_X0_I0+4], v78 // pack two half Vgpr to one Vgpr
v_or_b32 v[vgprValuB_X0_I0+5], v[vgprValuB_X0_I0+5], v79 // pack two half Vgpr to one Vgpr
v_or_b32 v[vgprValuB_X0_I0+6], v[vgprValuB_X0_I0+6], v80 // pack two half Vgpr to one Vgpr
v_or_b32 v[vgprValuB_X0_I0+7], v[vgprValuB_X0_I0+7], v81 // pack two half Vgpr to one Vgpr
v_mfma_f32_16x16x16f16 a[4+0:7+0], v[vgprValuA_X0_I0+0+0+0:vgprValuA_X0_I0+0+0+0+1], v[vgprValuB_X0_I0+2+0+0:vgprValuB_X0_I0+2+0+0+1], a[4:7]
/*  mfmaIndex:2  */
/* localReadsVacancy: latencyLeft 5 */
_ds_load_u16 v[vgprValuB_X1_I0+0], v[vgprLocalReadAddrB] offset:4608 // L -> Reg lro=2304 swapByteOffset=0 ti=16 vIdx=0 rIdx=0 oIdx=0 buffer=1 iui=0
_ds_load_u16 v[vgprValuB_X1_I0+1], v[vgprLocalReadAddrB] offset:5184 // L -> Reg lro=2304 swapByteOffset=0 ti=16 vIdx=0 rIdx=2 oIdx=0 buffer=1 iui=0
/* pack scheduling: packAIdx:2, packBIdx:6 */
v_or_b32 v[vgprValuB_X0_I0+8], v[vgprValuB_X0_I0+8], v82 // pack two half Vgpr to one Vgpr
v_or_b32 v[vgprValuB_X0_I0+9], v[vgprValuB_X0_I0+9], v83 // pack two half Vgpr to one Vgpr
v_or_b32 v[vgprValuB_X0_I0+10], v[vgprValuB_X0_I0+10], v84 // pack two half Vgpr to one Vgpr
v_or_b32 v[vgprValuB_X0_I0+11], v[vgprValuB_X0_I0+11], v85 // pack two half Vgpr to one Vgpr
v_mfma_f32_16x16x16f16 a[8+0:11+0], v[vgprValuA_X0_I0+0+0+0:vgprValuA_X0_I0+0+0+0+1], v[vgprValuB_X0_I0+4+0+0:vgprValuB_X0_I0+4+0+0+1], a[8:11]
/*  mfmaIndex:3  */
/* localReadsVacancy: latencyLeft 5 */
_ds_load_u16 v[vgprValuB_X1_I0+2], v[vgprLocalReadAddrB] offset:4640 // L -> Reg lro=2304 swapByteOffset=0 ti=16 vIdx=1 rIdx=0 oIdx=0 buffer=1 iui=0
_ds_load_u16 v[vgprValuB_X1_I0+3], v[vgprLocalReadAddrB] offset:5216 // L -> Reg lro=2304 swapByteOffset=0 ti=16 vIdx=1 rIdx=2 oIdx=0 buffer=1 iui=0
	;; [unrolled: 10-line block ×3, first 2 shown]
/* pack scheduling: packAIdx:2, packBIdx:10 */
v_or_b32 v[vgprValuB_X0_I0+16], v[vgprValuB_X0_I0+16], v90 // pack two half Vgpr to one Vgpr
v_or_b32 v[vgprValuB_X0_I0+17], v[vgprValuB_X0_I0+17], v91 // pack two half Vgpr to one Vgpr
v_mfma_f32_16x16x16f16 a[16+0:19+0], v[vgprValuA_X0_I0+0+0+0:vgprValuA_X0_I0+0+0+0+1], v[vgprValuB_X0_I0+8+0+0:vgprValuB_X0_I0+8+0+0+1], a[16:19]
/*  mfmaIndex:5  */
/* localReadsVacancy: latencyLeft 5 */
_ds_load_u16 v[vgprValuB_X1_I0+6], v[vgprLocalReadAddrB] offset:4704 // L -> Reg lro=2304 swapByteOffset=0 ti=16 vIdx=3 rIdx=0 oIdx=0 buffer=1 iui=0
_ds_load_u16 v[vgprValuB_X1_I0+7], v[vgprLocalReadAddrB] offset:5280 // L -> Reg lro=2304 swapByteOffset=0 ti=16 vIdx=3 rIdx=2 oIdx=0 buffer=1 iui=0
v_mfma_f32_16x16x16f16 a[20+0:23+0], v[vgprValuA_X0_I0+0+0+0:vgprValuA_X0_I0+0+0+0+1], v[vgprValuB_X0_I0+10+0+0:vgprValuB_X0_I0+10+0+0+1], a[20:23]
/*  mfmaIndex:6  */
/* localReadsVacancy: latencyLeft 5 */
_ds_load_u16 v[vgprValuB_X1_I0+8], v[vgprLocalReadAddrB] offset:4736 // L -> Reg lro=2304 swapByteOffset=0 ti=16 vIdx=4 rIdx=0 oIdx=0 buffer=1 iui=0
_ds_load_u16 v[vgprValuB_X1_I0+9], v[vgprLocalReadAddrB] offset:5312 // L -> Reg lro=2304 swapByteOffset=0 ti=16 vIdx=4 rIdx=2 oIdx=0 buffer=1 iui=0
	;; [unrolled: 5-line block ×4, first 2 shown]
v_mfma_f32_16x16x16f16 a[32+0:35+0], v[vgprValuA_X0_I0+0+0+0:vgprValuA_X0_I0+0+0+0+1], v[vgprValuB_X0_I0+16+0+0:vgprValuB_X0_I0+16+0+0+1], a[32:35]
/* numPrefetchIter=0 */
/* dataAtIterA=0 numReadsIterA=1 skipReadsIterA=0 readsPerIterA=4 */
/* dataAtIterB=0 numReadsIterB=1 skipReadsIterB=0 readsPerIterB=36 */


/* iter 1 (last unrolled loop) */

/*  grEndMfmaIndex:0, lwStartMfmaIndex:17, lwEndMfmaIndex:17  */
/*  numMfmaForLR:8, barrierMfmaIndex:0 */
/*  mfmaIndex:9  */
_ds_load_u16_d16_hi v72, v[vgprLocalReadAddrA] offset:2176 // L -> Reg lro=1024 swapByteOffset=0 ti=64 vIdx=0 rIdx=1 oIdx=0 buffer=1 iui=0
_ds_load_u16_d16_hi v73, v[vgprLocalReadAddrA] offset:2432 // L -> Reg lro=1024 swapByteOffset=0 ti=64 vIdx=0 rIdx=3 oIdx=0 buffer=1 iui=0
_ds_load_u16_d16_hi v74, v[vgprLocalReadAddrB] offset:4896 // L -> Reg lro=2304 swapByteOffset=0 ti=16 vIdx=0 rIdx=1 oIdx=0 buffer=1 iui=0
_ds_load_u16_d16_hi v75, v[vgprLocalReadAddrB] offset:5472 // L -> Reg lro=2304 swapByteOffset=0 ti=16 vIdx=0 rIdx=3 oIdx=0 buffer=1 iui=0
	;; [unrolled: 1-line block ×14, first 2 shown]
_ds_load_u16 v[vgprValuB_X1_I0+14], v[vgprLocalReadAddrB] offset:4832 // L -> Reg lro=2304 swapByteOffset=0 ti=16 vIdx=7 rIdx=0 oIdx=0 buffer=1 iui=0
_ds_load_u16_d16_hi v88, v[vgprLocalReadAddrB] offset:5120 // L -> Reg lro=2304 swapByteOffset=0 ti=16 vIdx=7 rIdx=1 oIdx=0 buffer=1 iui=0
_ds_load_u16 v[vgprValuB_X1_I0+15], v[vgprLocalReadAddrB] offset:5408 // L -> Reg lro=2304 swapByteOffset=0 ti=16 vIdx=7 rIdx=2 oIdx=0 buffer=1 iui=0
_ds_load_u16_d16_hi v89, v[vgprLocalReadAddrB] offset:5696 // L -> Reg lro=2304 swapByteOffset=0 ti=16 vIdx=7 rIdx=3 oIdx=0 buffer=1 iui=0
	;; [unrolled: 2-line block ×4, first 2 shown]
s_waitcnt lgkmcnt(0)                               // lgkmcnt=0 vmcnt=-1wait for prior local read local write old=0, new=0 newLW=0 newLR=0
/* pack scheduling: packAIdx:2, packBIdx:2 */
v_or_b32 v[vgprValuA_X1_I0+0], v[vgprValuA_X1_I0+0], v72 // pack two half Vgpr to one Vgpr
v_or_b32 v[vgprValuA_X1_I0+1], v[vgprValuA_X1_I0+1], v73 // pack two half Vgpr to one Vgpr
v_or_b32 v[vgprValuB_X1_I0+0], v[vgprValuB_X1_I0+0], v74 // pack two half Vgpr to one Vgpr
v_or_b32 v[vgprValuB_X1_I0+1], v[vgprValuB_X1_I0+1], v75 // pack two half Vgpr to one Vgpr
v_or_b32 v[vgprValuB_X1_I0+2], v[vgprValuB_X1_I0+2], v76 // pack two half Vgpr to one Vgpr
v_or_b32 v[vgprValuB_X1_I0+3], v[vgprValuB_X1_I0+3], v77 // pack two half Vgpr to one Vgpr
v_mfma_f32_16x16x16f16 a[0+0:3+0], v[vgprValuA_X1_I0+0+0+0:vgprValuA_X1_I0+0+0+0+1], v[vgprValuB_X1_I0+0+0+0:vgprValuB_X1_I0+0+0+0+1], a[0:3]
/*  mfmaIndex:10  */
/* localReadsVacancy: latencyLeft 5 */
/* pack scheduling: packAIdx:2, packBIdx:4 */
v_or_b32 v[vgprValuB_X1_I0+4], v[vgprValuB_X1_I0+4], v78 // pack two half Vgpr to one Vgpr
v_or_b32 v[vgprValuB_X1_I0+5], v[vgprValuB_X1_I0+5], v79 // pack two half Vgpr to one Vgpr
v_or_b32 v[vgprValuB_X1_I0+6], v[vgprValuB_X1_I0+6], v80 // pack two half Vgpr to one Vgpr
v_or_b32 v[vgprValuB_X1_I0+7], v[vgprValuB_X1_I0+7], v81 // pack two half Vgpr to one Vgpr
v_mfma_f32_16x16x16f16 a[4+0:7+0], v[vgprValuA_X1_I0+0+0+0:vgprValuA_X1_I0+0+0+0+1], v[vgprValuB_X1_I0+2+0+0:vgprValuB_X1_I0+2+0+0+1], a[4:7]
/*  mfmaIndex:11  */
/* localReadsVacancy: latencyLeft 5 */
/* pack scheduling: packAIdx:2, packBIdx:6 */
v_or_b32 v[vgprValuB_X1_I0+8], v[vgprValuB_X1_I0+8], v82 // pack two half Vgpr to one Vgpr
v_or_b32 v[vgprValuB_X1_I0+9], v[vgprValuB_X1_I0+9], v83 // pack two half Vgpr to one Vgpr
v_or_b32 v[vgprValuB_X1_I0+10], v[vgprValuB_X1_I0+10], v84 // pack two half Vgpr to one Vgpr
v_or_b32 v[vgprValuB_X1_I0+11], v[vgprValuB_X1_I0+11], v85 // pack two half Vgpr to one Vgpr
v_mfma_f32_16x16x16f16 a[8+0:11+0], v[vgprValuA_X1_I0+0+0+0:vgprValuA_X1_I0+0+0+0+1], v[vgprValuB_X1_I0+4+0+0:vgprValuB_X1_I0+4+0+0+1], a[8:11]
/*  mfmaIndex:12  */
/* localReadsVacancy: latencyLeft 5 */
/* pack scheduling: packAIdx:2, packBIdx:8 */
v_or_b32 v[vgprValuB_X1_I0+12], v[vgprValuB_X1_I0+12], v86 // pack two half Vgpr to one Vgpr
v_or_b32 v[vgprValuB_X1_I0+13], v[vgprValuB_X1_I0+13], v87 // pack two half Vgpr to one Vgpr
v_or_b32 v[vgprValuB_X1_I0+14], v[vgprValuB_X1_I0+14], v88 // pack two half Vgpr to one Vgpr
v_or_b32 v[vgprValuB_X1_I0+15], v[vgprValuB_X1_I0+15], v89 // pack two half Vgpr to one Vgpr
v_mfma_f32_16x16x16f16 a[12+0:15+0], v[vgprValuA_X1_I0+0+0+0:vgprValuA_X1_I0+0+0+0+1], v[vgprValuB_X1_I0+6+0+0:vgprValuB_X1_I0+6+0+0+1], a[12:15]
/*  mfmaIndex:13  */
/* localReadsVacancy: latencyLeft 5 */
/* pack scheduling: packAIdx:2, packBIdx:10 */
v_or_b32 v[vgprValuB_X1_I0+16], v[vgprValuB_X1_I0+16], v90 // pack two half Vgpr to one Vgpr
v_or_b32 v[vgprValuB_X1_I0+17], v[vgprValuB_X1_I0+17], v91 // pack two half Vgpr to one Vgpr
v_mfma_f32_16x16x16f16 a[16+0:19+0], v[vgprValuA_X1_I0+0+0+0:vgprValuA_X1_I0+0+0+0+1], v[vgprValuB_X1_I0+8+0+0:vgprValuB_X1_I0+8+0+0+1], a[16:19]
/*  mfmaIndex:14  */
/* localReadsVacancy: latencyLeft 5 */
v_mfma_f32_16x16x16f16 a[20+0:23+0], v[vgprValuA_X1_I0+0+0+0:vgprValuA_X1_I0+0+0+0+1], v[vgprValuB_X1_I0+10+0+0:vgprValuB_X1_I0+10+0+0+1], a[20:23]
/*  mfmaIndex:15  */
/* localReadsVacancy: latencyLeft 5 */
	;; [unrolled: 3-line block ×4, first 2 shown]
v_mfma_f32_16x16x16f16 a[32+0:35+0], v[vgprValuA_X1_I0+0+0+0:vgprValuA_X1_I0+0+0+0+1], v[vgprValuB_X1_I0+16+0+0:vgprValuB_X1_I0+16+0+0+1], a[32:35]
/* numPrefetchIter=0 */
/* dataAtIterA=1 numReadsIterA=2 skipReadsIterA=0 readsPerIterA=4 */
/* dataAtIterB=1 numReadsIterB=2 skipReadsIterB=0 readsPerIterB=36 */

PrefetchGlobalLastIterEnd_5:


/******************************************/
/* Tail Loop                              */
/******************************************/


/* local write reset offsets a */


v_and_b32 v[vgprLocalWriteAddrA], 0xf03fff, v[vgprLocalWriteAddrA] // reset to Red


/* local write reset offsets b */


v_and_b32 v[vgprLocalWriteAddrB], 0xf03fff, v[vgprLocalWriteAddrB] // reset to Red


//numIterL = (((sizeL % LOCAL_DEPTHU) + LOCAL_SPLITU - 1) / LOCAL_SPLITU)
s_and_b32 s[sgprLoopCounterL], 31, s[sgprSizesSum+0] // s[sgprLoopCounterL] = s[sgprSizesSum+0] % 32
s_cmp_eq_u32 s[sgprLoopCounterL], 0x0              // numIterL == 0
s_cbranch_scc1 SkipTailLoopL_8                     // skip to end of tail loop b/c numIter==0
s_mov_b32 s[sgprOrigLoopCounter], 0                // repurpose to count each localRead increment


/* remove stagger offsets for tail loop */

s_mov_b32 s58, 3                                   // 
s_mul_hi_u32 s57, s58, s[sgprGlobalReadIncsA+0]    // 3 * GlobalReadIncs
s_mul_i32 s56, s58, s[sgprGlobalReadIncsA+0]       // 3 * GlobalReadIncs
s_mul_hi_u32 s59, s[sgprStaggerUIter], s[sgprGlobalReadIncsA+0] // StaggerUIter * GlobalReadIncs
s_mul_i32 s58, s[sgprStaggerUIter], s[sgprGlobalReadIncsA+0] // StaggerUIter * GlobalReadIncs
s_sub_u32 s56, s56, s58                            // start offset S in bytes
s_subb_u32 s57, s57, s59                           // start offset S in bytes
s_sub_u32 s56, s56, s[sgprWrapUA]                  // S - WrapU
s_subb_u32 s57, s57, s[sgprWrapUA+1]               // S - WrapU
s_add_u32 s[sgprSrdA+0], s[sgprSrdA+0], s56        // gra SRD += inc(lower)
s_addc_u32  s[sgprSrdA+1], s[sgprSrdA+1], s57      // gra SRD += inc(upper)
s_sub_u32 s[sgprShadowLimitA+0], s[sgprShadowLimitA+0], s56 // limit -= inc)
s_subb_u32 s[sgprShadowLimitA+1], s[sgprShadowLimitA+1], s57 // limit -= inc)
s_cmp_eq_u32 s[sgprShadowLimitA+1], 0              // are we within 2^32?
s_cselect_b32 s[sgprSrdA+2], s[sgprShadowLimitA+0], BufferLimitA // Move shadow to real if we are within 2^32

s_mov_b32 s58, 3                                   // 
s_mul_hi_u32 s57, s58, s[sgprGlobalReadIncsB+0]    // 3 * GlobalReadIncs
s_mul_i32 s56, s58, s[sgprGlobalReadIncsB+0]       // 3 * GlobalReadIncs
s_mul_hi_u32 s59, s[sgprStaggerUIter], s[sgprGlobalReadIncsB+0] // StaggerUIter * GlobalReadIncs
s_mul_i32 s58, s[sgprStaggerUIter], s[sgprGlobalReadIncsB+0] // StaggerUIter * GlobalReadIncs
s_sub_u32 s56, s56, s58                            // start offset S in bytes
s_subb_u32 s57, s57, s59                           // start offset S in bytes
s_sub_u32 s56, s56, s[sgprWrapUB]                  // S - WrapU
s_subb_u32 s57, s57, s[sgprWrapUB+1]               // S - WrapU
s_add_u32 s[sgprSrdB+0], s[sgprSrdB+0], s56        // gra SRD += inc(lower)
s_addc_u32  s[sgprSrdB+1], s[sgprSrdB+1], s57      // gra SRD += inc(upper)
s_sub_u32 s[sgprShadowLimitB+0], s[sgprShadowLimitB+0], s56 // limit -= inc)
s_subb_u32 s[sgprShadowLimitB+1], s[sgprShadowLimitB+1], s57 // limit -= inc)
s_cmp_eq_u32 s[sgprShadowLimitB+1], 0              // are we within 2^32?
s_cselect_b32 s[sgprSrdB+2], s[sgprShadowLimitB+0], BufferLimitB // Move shadow to real if we are within 2^32


/* Update M0 for DTLDS */


	;; [unrolled: 1-line block ×3, first 2 shown]
/* global read a */

/* g2l=0, load component 0 */
_buffer_load_d16_b16 v[vgprG2LA+0+0], v[vgprGlobalReadOffsetA+0], s[sgprSrdA:sgprSrdA+3], 0, offen offset:0 // load one buffer value
/* g2l=0, load component 1 */
_buffer_load_d16_hi_b16 v72, v[vgprGlobalReadOffsetA+0], s[sgprSrdA:sgprSrdA+3], 0, offen offset:2 // load one buffer value
s_waitcnt vmcnt(0)
v_or_b32 v[vgprG2LA+0+0], v[vgprG2LA+0+0], v72 // HasEccHalf: pack
/* g2l=1, load component 0 */
_buffer_load_d16_b16 v[vgprG2LA+1+0], v[vgprGlobalReadOffsetA+1], s[sgprSrdA:sgprSrdA+3], 0, offen offset:0 // load one buffer value
/* g2l=1, load component 1 */
_buffer_load_d16_hi_b16 v72, v[vgprGlobalReadOffsetA+1], s[sgprSrdA:sgprSrdA+3], 0, offen offset:2 // load one buffer value
s_waitcnt vmcnt(0)
v_or_b32 v[vgprG2LA+1+0], v[vgprG2LA+1+0], v72 // HasEccHalf: pack
	;; [unrolled: 6-line block ×4, first 2 shown]


/* Update M0 for DTLDS */


	;; [unrolled: 1-line block ×3, first 2 shown]
/* global read b */

/* g2l=0, load component 0 */
_buffer_load_d16_b16 v[vgprG2LB+0+0], v[vgprGlobalReadOffsetB+0], s[sgprSrdB:sgprSrdB+3], 0, offen offset:0 // load one buffer value
/* g2l=0, load component 1 */
_buffer_load_d16_hi_b16 v72, v[vgprGlobalReadOffsetB+0], s[sgprSrdB:sgprSrdB+3], 0, offen offset:2 // load one buffer value
s_waitcnt vmcnt(0)
v_or_b32 v[vgprG2LB+0+0], v[vgprG2LB+0+0], v72 // HasEccHalf: pack
/* g2l=1, load component 0 */
_buffer_load_d16_b16 v[vgprG2LB+1+0], v[vgprGlobalReadOffsetB+1], s[sgprSrdB:sgprSrdB+3], 0, offen offset:0 // load one buffer value
/* g2l=1, load component 1 */
_buffer_load_d16_hi_b16 v72, v[vgprGlobalReadOffsetB+1], s[sgprSrdB:sgprSrdB+3], 0, offen offset:2 // load one buffer value
s_waitcnt vmcnt(0)
v_or_b32 v[vgprG2LB+1+0], v[vgprG2LB+1+0], v72 // HasEccHalf: pack
/* g2l=2, load component 0 */
_buffer_load_d16_b16 v[vgprG2LB+2+0], v[vgprGlobalReadOffsetB+2], s[sgprSrdB:sgprSrdB+3], 0, offen offset:0 // load one buffer value
/* g2l=2, load component 1 */
_buffer_load_d16_hi_b16 v72, v[vgprGlobalReadOffsetB+2], s[sgprSrdB:sgprSrdB+3], 0, offen offset:2 // load one buffer value
s_waitcnt vmcnt(0)
v_or_b32 v[vgprG2LB+2+0], v[vgprG2LB+2+0], v72 // HasEccHalf: pack
/* g2l=3, load component 0 */
_buffer_load_d16_b16 v[vgprG2LB+3+0], v[vgprGlobalReadOffsetB+3], s[sgprSrdB:sgprSrdB+3], 0, offen offset:0 // load one buffer value
/* g2l=3, load component 1 */
_buffer_load_d16_hi_b16 v72, v[vgprGlobalReadOffsetB+3], s[sgprSrdB:sgprSrdB+3], 0, offen offset:2 // load one buffer value
s_waitcnt vmcnt(0)
v_or_b32 v[vgprG2LB+3+0], v[vgprG2LB+3+0], v72 // HasEccHalf: pack
/* g2l=4, load component 0 */
_buffer_load_d16_b16 v[vgprG2LB+4+0], v[vgprGlobalReadOffsetB+4], s[sgprSrdB:sgprSrdB+3], 0, offen offset:0 // load one buffer value
/* g2l=4, load component 1 */
_buffer_load_d16_hi_b16 v72, v[vgprGlobalReadOffsetB+4], s[sgprSrdB:sgprSrdB+3], 0, offen offset:2 // load one buffer value
s_waitcnt vmcnt(0)
v_or_b32 v[vgprG2LB+4+0], v[vgprG2LB+4+0], v72 // HasEccHalf: pack
/* g2l=5, load component 0 */
_buffer_load_d16_b16 v[vgprG2LB+5+0], v[vgprGlobalReadOffsetB+5], s[sgprSrdB:sgprSrdB+3], 0, offen offset:0 // load one buffer value
/* g2l=5, load component 1 */
_buffer_load_d16_hi_b16 v72, v[vgprGlobalReadOffsetB+5], s[sgprSrdB:sgprSrdB+3], 0, offen offset:2 // load one buffer value
s_waitcnt vmcnt(0)
v_or_b32 v[vgprG2LB+5+0], v[vgprG2LB+5+0], v72 // HasEccHalf: pack
/* g2l=6, load component 0 */
_buffer_load_d16_b16 v[vgprG2LB+6+0], v[vgprGlobalReadOffsetB+6], s[sgprSrdB:sgprSrdB+3], 0, offen offset:0 // load one buffer value
/* g2l=6, load component 1 */
_buffer_load_d16_hi_b16 v72, v[vgprGlobalReadOffsetB+6], s[sgprSrdB:sgprSrdB+3], 0, offen offset:2 // load one buffer value
s_waitcnt vmcnt(0)
v_or_b32 v[vgprG2LB+6+0], v[vgprG2LB+6+0], v72 // HasEccHalf: pack
/* g2l=7, load component 0 */
_buffer_load_d16_b16 v[vgprG2LB+7+0], v[vgprGlobalReadOffsetB+7], s[sgprSrdB:sgprSrdB+3], 0, offen offset:0 // load one buffer value
/* g2l=7, load component 1 */
_buffer_load_d16_hi_b16 v72, v[vgprGlobalReadOffsetB+7], s[sgprSrdB:sgprSrdB+3], 0, offen offset:2 // load one buffer value
s_waitcnt vmcnt(0)
v_or_b32 v[vgprG2LB+7+0], v[vgprG2LB+7+0], v72 // HasEccHalf: pack
/* g2l=8, load component 0 */
_buffer_load_d16_b16 v[vgprG2LB+8+0], v[vgprGlobalReadOffsetB+8], s[sgprSrdB:sgprSrdB+3], 0, offen offset:0 // load one buffer value
/* g2l=8, load component 1 */
_buffer_load_d16_hi_b16 v72, v[vgprGlobalReadOffsetB+8], s[sgprSrdB:sgprSrdB+3], 0, offen offset:2 // load one buffer value
s_waitcnt vmcnt(0)
v_or_b32 v[vgprG2LB+8+0], v[vgprG2LB+8+0], v72 // HasEccHalf: pack

s_waitcnt vmcnt(0)                                 // lgkmcnt=-1 vmcnt=02wait for global read

s_waitcnt lgkmcnt(0) & vmcnt(0)                    // force waitcnt0
s_barrier //


/* Done global A/B reads */




/* local write a */

_ds_store_b32 v[vgprLocalWriteAddrA], v[vgprG2LA+0] offset:0 // lwoA_0_0_0_0 = (0*LSCA) + (0*LSPA)(*MT0I+PAD) = 0
_ds_store_b32 v[vgprLocalWriteAddrA], v[vgprG2LA+1] offset:256 // lwoA_0_0_1_0 = (0*LSCA) + (1*LSPA)(*MT0I+PAD) = 256
_ds_store_b32 v[vgprLocalWriteAddrA], v[vgprG2LA+2] offset:512 // lwoA_0_0_2_0 = (0*LSCA) + (2*LSPA)(*MT0I+PAD) = 512
_ds_store_b32 v[vgprLocalWriteAddrA], v[vgprG2LA+3] offset:768 // lwoA_0_0_3_0 = (0*LSCA) + (3*LSPA)(*MT0I+PAD) = 768


/* local write b */

_ds_store_b32 v[vgprLocalWriteAddrB], v[vgprG2LB+0] offset:0 // lwoB_0_0_0_0 = (0*LSCB) + (0*LSPB)(*MT1J+PAD) = 0
_ds_store_b32 v[vgprLocalWriteAddrB], v[vgprG2LB+1] offset:32 // lwoB_1_0_0_0 = (1*LSCB) + (0*LSPB)(*MT1J+PAD) = 32
_ds_store_b32 v[vgprLocalWriteAddrB], v[vgprG2LB+2] offset:64 // lwoB_2_0_0_0 = (2*LSCB) + (0*LSPB)(*MT1J+PAD) = 64
_ds_store_b32 v[vgprLocalWriteAddrB], v[vgprG2LB+3] offset:96 // lwoB_3_0_0_0 = (3*LSCB) + (0*LSPB)(*MT1J+PAD) = 96
_ds_store_b32 v[vgprLocalWriteAddrB], v[vgprG2LB+4] offset:128 // lwoB_4_0_0_0 = (4*LSCB) + (0*LSPB)(*MT1J+PAD) = 128
_ds_store_b32 v[vgprLocalWriteAddrB], v[vgprG2LB+5] offset:160 // lwoB_5_0_0_0 = (5*LSCB) + (0*LSPB)(*MT1J+PAD) = 160
_ds_store_b32 v[vgprLocalWriteAddrB], v[vgprG2LB+6] offset:192 // lwoB_6_0_0_0 = (6*LSCB) + (0*LSPB)(*MT1J+PAD) = 192
_ds_store_b32 v[vgprLocalWriteAddrB], v[vgprG2LB+7] offset:224 // lwoB_7_0_0_0 = (7*LSCB) + (0*LSPB)(*MT1J+PAD) = 224
_ds_store_b32 v[vgprLocalWriteAddrB], v[vgprG2LB+8] offset:256 // lwoB_8_0_0_0 = (8*LSCB) + (0*LSPB)(*MT1J+PAD) = 256


/* Recalc local read offsets */


s_waitcnt lgkmcnt(0)                               // lgkmcnt=0 vmcnt=-15wait for local write

s_waitcnt lgkmcnt(0) & vmcnt(0)                    // force waitcnt0
s_barrier //


/* local read reset offsets a */


/* localReadResetOffsets */
/* handled internally */
v_and_b32 v[vgprLocalReadAddrA], 0x3fff, v[vgprLocalReadAddrA] // reset Red,Blk -> Red


/* local read reset offsets b */


/* localReadResetOffsets */
/* handled internally */
v_and_b32 v[vgprLocalReadAddrB], 0x3fff, v[vgprLocalReadAddrB] // reset Red,Blk -> Red


/* local read init pointers a */


/* localReadInitPointers */


/* local read init pointers b */


/* localReadInitPointers */


/* tail loop: macs */

TailLoopBeginL_6:


/* local read a */

_ds_load_u16 v[vgprValuA_X0_I0+0], v[vgprLocalReadAddrA] offset:0 // L -> Reg lro=0 swapByteOffset=0 ti=64 vIdx=0 rIdx=0 oIdx=0 buffer=0 iui=0
_ds_load_u16_d16_hi v72, v[vgprLocalReadAddrA] offset:128 // L -> Reg lro=0 swapByteOffset=0 ti=64 vIdx=0 rIdx=1 oIdx=0 buffer=0 iui=0
_ds_load_u16 v[vgprValuA_X0_I0+1], v[vgprLocalReadAddrA] offset:256 // L -> Reg lro=0 swapByteOffset=0 ti=64 vIdx=0 rIdx=2 oIdx=0 buffer=0 iui=0
_ds_load_u16_d16_hi v73, v[vgprLocalReadAddrA] offset:384 // L -> Reg lro=0 swapByteOffset=0 ti=64 vIdx=0 rIdx=3 oIdx=0 buffer=0 iui=0


/* local read b */

_ds_load_u16 v[vgprValuB_X0_I0+0], v[vgprLocalReadAddrB] offset:0 // L -> Reg lro=0 swapByteOffset=0 ti=16 vIdx=0 rIdx=0 oIdx=0 buffer=0 iui=0
_ds_load_u16_d16_hi v74, v[vgprLocalReadAddrB] offset:288 // L -> Reg lro=0 swapByteOffset=0 ti=16 vIdx=0 rIdx=1 oIdx=0 buffer=0 iui=0
_ds_load_u16 v[vgprValuB_X0_I0+1], v[vgprLocalReadAddrB] offset:576 // L -> Reg lro=0 swapByteOffset=0 ti=16 vIdx=0 rIdx=2 oIdx=0 buffer=0 iui=0
_ds_load_u16_d16_hi v75, v[vgprLocalReadAddrB] offset:864 // L -> Reg lro=0 swapByteOffset=0 ti=16 vIdx=0 rIdx=3 oIdx=0 buffer=0 iui=0
	;; [unrolled: 2-line block ×18, first 2 shown]


/* local read inc a */

s_mov_b32 s56, 0x800                               // inc
_v_add_co_u32 v[vgprLocalReadAddrA], vcc, s56, v[vgprLocalReadAddrA] // lrA += 2048 (LSU*(MT+PAD)*bpe)


/* local read inc b */

s_mov_b32 s56, 0x1200                              // inc
_v_add_co_u32 v[vgprLocalReadAddrB], vcc, s56, v[vgprLocalReadAddrB] // lrB += 4608 (LSU*(MT+PAD)*bpe)

s_waitcnt lgkmcnt(0)                               // lgkmcnt=0 vmcnt=-14wait for local read

v_or_b32 v[vgprValuA_X0_I0+0], v[vgprValuA_X0_I0+0], v72 // pack two half Vgpr to one Vgpr
v_or_b32 v[vgprValuA_X0_I0+1], v[vgprValuA_X0_I0+1], v73 // pack two half Vgpr to one Vgpr
v_or_b32 v[vgprValuB_X0_I0+0], v[vgprValuB_X0_I0+0], v74 // pack two half Vgpr to one Vgpr
v_or_b32 v[vgprValuB_X0_I0+1], v[vgprValuB_X0_I0+1], v75 // pack two half Vgpr to one Vgpr
	;; [unrolled: 1-line block ×18, first 2 shown]

s_nop 1
v_mfma_f32_16x16x16f16 a[0+0:3+0], v[vgprValuA_X0_I0+0+0+0:vgprValuA_X0_I0+0+0+0+1], v[vgprValuB_X0_I0+0+0+0:vgprValuB_X0_I0+0+0+0+1], a[0:3]
v_mfma_f32_16x16x16f16 a[4+0:7+0], v[vgprValuA_X0_I0+0+0+0:vgprValuA_X0_I0+0+0+0+1], v[vgprValuB_X0_I0+2+0+0:vgprValuB_X0_I0+2+0+0+1], a[4:7]
	;; [unrolled: 1-line block ×9, first 2 shown]


/* closeLoop loopL finalLoop=1 tailLoop=1 */
s_sub_i32 s[sgprLoopCounterL], s[sgprLoopCounterL], 0x10 // dec counterL (tailLoop)
s_add_u32 s[sgprOrigLoopCounter], s[sgprOrigLoopCounter], 0x10 // inc counterL
s_cmp_le_i32 s[sgprLoopCounterL], 0x0              // counterL<=0
s_cbranch_scc0 TailLoopBeginL_6                    // restart LoopL
TailLoopEndL_7:

SkipTailLoopL_8:

Summation_End_28:
/* endSummation: add vgpr [0...69) to pool */
.set NumFullBlocks, UNDEF
.set WgmRemainder1, UNDEF
.set MagicNumberWgmRemainder1, UNDEF

/* Mapping of Acc register -> C Vgpr register */


/* shift vector components d0 */

v_mov_b32 v1, s[sgprWorkGroup0]                    // 
v_mul_i32_i24 v1, -0x40, v1                        // wg*MT
_v_add_co_u32 v1, vcc, s[sgprSizesFree+0], v1      // wgMT = Size - wg*MT
v_mov_b32 v2, 0x40                                 // MT
v_min_u32 v1, v2, v1                               // wgMT = (wgMT < MT) ? wgMT : MT
v_lshrrev_b32 v0, 6, v[vgprSerial]                 // v0 = v[vgprSerial] / 64
v_and_b32 v3, 3, v0                                // v3 = v0 % 4
v_lshrrev_b32 v0, 4, v1                            // v0 = v1 / 16
v_and_b32 v4, 3, v0                                // v4 = v0 % 4
v_cmp_eq_u32 s[54:55], v4, v3                      // wave_id == block_belong_to_wave?
v_cndmask_b32 v1, v2, v1, s[54:55]                 // wgMT = (wgMT < MT) ? wgMT : MT

/* mbReg: which mb block need to shift, mb(matrixInstCoal(16) * VectorWidth(1)) */
v_lshrrev_b32 v2, 4, v1                            // v2 = v1 / 16
v_lshlrev_b32 v4, 0x0, v3                          // v4 = v3 * 1
_v_sub_u32 v2, v2, v4                              // 

/* gbReg: glvw block id */
v_lshrrev_b32 v4, 1, v1                            // v4 = v1 / 2

/* tgbReg: glvw block id */
v_lshrrev_b32 v0, 4, v[vgprSerial]                 // v0 = v[vgprSerial] / 16
v_and_b32 v5, 3, v0                                // v5 = v0 % 4
v_lshlrev_b32 v5, 0x2, v5                          // v5 = v5 * 4
v_lshrrev_b32 v5, 1, v5                            // v5 = v5 / 2
v_lshlrev_b32 v3, 0x3, v3                          // v3 = v3 * 8
_v_add_co_u32 v5, vcc, v3, v5                      // tgbReg = (tid_coal * continOut) / GLVW
_v_sub_u32 v4, v4, v5                              // 

/* vwReg: glvw in which vw block? */
v_and_b32 v3, 3, v1                                // permute register between threads
v_lshrrev_b32 v3, 1, v3                            // permute register between threads

/* rReg : reminder of M_size % GlobalLoadVectorWidth */
v_and_b32 v5, 1, v1                                // v5 = v1 % 2
v_cmp_eq_u32 vcc, v5, 0x1                          // wgMT%VW == 1
s_cbranch_vccnz label_0029                         // branch to shift d0 r=1
s_branch label_0033                                // no shifting

/******************************************/
/* shift d0 r=1                           */
/******************************************/
label_0029:
v_cmp_eq_u32 vcc, v2, 0x0                          // 
s_cbranch_vccnz label_0030                         // branch to shift d0 r1 mb0

/******************************************/
/* shift d0 r=1 mb=0                      */
/******************************************/
label_0030: // r1 mb0 
v_cmp_eq_u32 vcc, v3, 0x0                          // 
s_cbranch_vccnz label_0031                         // branch to shift d0 r1 mb0 vw0
v_cmp_eq_u32 vcc, v3, 0x1                          // 
s_cbranch_vccnz label_0032                         // branch to shift d0 r1 mb0 vw1

/******************************************/
/* shift d0 r=1 mb=0 vw0                  */
/******************************************/
label_0031: // r1 mb0 vw0 
s_mov_b32 s54, 0                                   // 
_v_cmpx_eq_u32 s[54:55], v4, s54                   // is thread in edge glvw region
v_and_b32 v0, 63, v[vgprSerial]                    // permute register between threads
v_lshlrev_b32 v0, 2, v0                            // permute register between threads
v_accvgpr_read_b32 v5, acc1                        // glvw 1 mb 0 tt1 0 r 0
s_nop 1                                            // v_accvgpr read vgpr after write vgpr: 2 wait states
v_accvgpr_write_b32 acc0, v5                       // 
v_accvgpr_read_b32 v5, acc5                        // glvw 1 mb 0 tt1 1 r 0
s_nop 1                                            // v_accvgpr read vgpr after write vgpr: 2 wait states
v_accvgpr_write_b32 acc4, v5                       // 
v_accvgpr_read_b32 v5, acc9                        // glvw 1 mb 0 tt1 2 r 0
s_nop 1                                            // v_accvgpr read vgpr after write vgpr: 2 wait states
v_accvgpr_write_b32 acc8, v5                       // 
v_accvgpr_read_b32 v5, acc13                       // glvw 1 mb 0 tt1 3 r 0
s_nop 1                                            // v_accvgpr read vgpr after write vgpr: 2 wait states
v_accvgpr_write_b32 acc12, v5                      // 
v_accvgpr_read_b32 v5, acc17                       // glvw 1 mb 0 tt1 4 r 0
s_nop 1                                            // v_accvgpr read vgpr after write vgpr: 2 wait states
v_accvgpr_write_b32 acc16, v5                      // 
v_accvgpr_read_b32 v5, acc21                       // glvw 1 mb 0 tt1 5 r 0
s_nop 1                                            // v_accvgpr read vgpr after write vgpr: 2 wait states
v_accvgpr_write_b32 acc20, v5                      // 
v_accvgpr_read_b32 v5, acc25                       // glvw 1 mb 0 tt1 6 r 0
s_nop 1                                            // v_accvgpr read vgpr after write vgpr: 2 wait states
v_accvgpr_write_b32 acc24, v5                      // 
v_accvgpr_read_b32 v5, acc29                       // glvw 1 mb 0 tt1 7 r 0
s_nop 1                                            // v_accvgpr read vgpr after write vgpr: 2 wait states
v_accvgpr_write_b32 acc28, v5                      // 
v_accvgpr_read_b32 v5, acc33                       // glvw 1 mb 0 tt1 8 r 0
s_nop 1                                            // v_accvgpr read vgpr after write vgpr: 2 wait states
v_accvgpr_write_b32 acc32, v5                      // 
s_mov_b64 s[54:55], 0xFFFFFFFFFFFFFFFF             // to restore all threads active
s_or_saveexec_b64 vcc, s[54:55]                    // all threads active
s_branch label_0033                                // done shifting


/******************************************/
/* shift d0 r=1 mb=0 vw1                  */
/******************************************/
label_0032: // r1 mb0 vw1 
s_mov_b32 s54, 1                                   // 
_v_cmpx_eq_u32 s[54:55], v4, s54                   // is thread in edge glvw region
v_and_b32 v0, 63, v[vgprSerial]                    // permute register between threads
v_lshlrev_b32 v0, 2, v0                            // permute register between threads
v_accvgpr_read_b32 v5, acc3                        // glvw 1 mb 0 tt1 0 r 0
s_nop 1                                            // v_accvgpr read vgpr after write vgpr: 2 wait states
v_accvgpr_write_b32 acc2, v5                       // 
v_accvgpr_read_b32 v5, acc7                        // glvw 1 mb 0 tt1 1 r 0
s_nop 1                                            // v_accvgpr read vgpr after write vgpr: 2 wait states
v_accvgpr_write_b32 acc6, v5                       // 
v_accvgpr_read_b32 v5, acc11                       // glvw 1 mb 0 tt1 2 r 0
s_nop 1                                            // v_accvgpr read vgpr after write vgpr: 2 wait states
v_accvgpr_write_b32 acc10, v5                      // 
v_accvgpr_read_b32 v5, acc15                       // glvw 1 mb 0 tt1 3 r 0
s_nop 1                                            // v_accvgpr read vgpr after write vgpr: 2 wait states
v_accvgpr_write_b32 acc14, v5                      // 
v_accvgpr_read_b32 v5, acc19                       // glvw 1 mb 0 tt1 4 r 0
s_nop 1                                            // v_accvgpr read vgpr after write vgpr: 2 wait states
v_accvgpr_write_b32 acc18, v5                      // 
v_accvgpr_read_b32 v5, acc23                       // glvw 1 mb 0 tt1 5 r 0
s_nop 1                                            // v_accvgpr read vgpr after write vgpr: 2 wait states
v_accvgpr_write_b32 acc22, v5                      // 
v_accvgpr_read_b32 v5, acc27                       // glvw 1 mb 0 tt1 6 r 0
s_nop 1                                            // v_accvgpr read vgpr after write vgpr: 2 wait states
v_accvgpr_write_b32 acc26, v5                      // 
v_accvgpr_read_b32 v5, acc31                       // glvw 1 mb 0 tt1 7 r 0
s_nop 1                                            // v_accvgpr read vgpr after write vgpr: 2 wait states
v_accvgpr_write_b32 acc30, v5                      // 
v_accvgpr_read_b32 v5, acc35                       // glvw 1 mb 0 tt1 8 r 0
s_nop 1                                            // v_accvgpr read vgpr after write vgpr: 2 wait states
v_accvgpr_write_b32 acc34, v5                      // 
s_mov_b64 s[54:55], 0xFFFFFFFFFFFFFFFF             // to restore all threads active
s_or_saveexec_b64 vcc, s[54:55]                    // all threads active
s_branch label_0033                                // done shifting

label_0033: // end shift0


/* shift vector components d1 */

v_mov_b32 v1, s[sgprWorkGroup1]                    // 
v_mul_i32_i24 v1, -0x90, v1                        // wg*MT
_v_add_co_u32 v1, vcc, s[sgprSizesFree+1], v1      // wgMT = Size - wg*MT
v_mov_b32 v2, 0x90                                 // MT
v_min_u32 v1, v2, v1                               // wgMT = (wgMT < MT) ? wgMT : MT
v_lshrrev_b32 v0, 8, v[vgprSerial]                 // v0 = v[vgprSerial] / 256
v_and_b32 v3, 0, v0                                // v3 = v0 % 1
v_lshrrev_b32 v0, 4, v1                            // v0 = v1 / 16
v_and_b32 v4, 0, v0                                // v4 = v0 % 1
v_cmp_eq_u32 s[54:55], v4, v3                      // wave_id == block_belong_to_wave?
v_cndmask_b32 v1, v2, v1, s[54:55]                 // wgMT = (wgMT < MT) ? wgMT : MT

/* mbReg: which mb block need to shift, mb(matrixInstCoal(16) * VectorWidth(1)) */
v_lshrrev_b32 v2, 4, v1                            // v2 = v1 / 16
v_lshlrev_b32 v4, 0x0, v3                          // v4 = v3 * 1
_v_sub_u32 v2, v2, v4                              // 

/* gbReg: glvw block id */
v_lshrrev_b32 v4, 1, v1                            // v4 = v1 / 2

/* tgbReg: glvw block id */
v_lshrrev_b32 v0, 0, v[vgprSerial]                 // v0 = v[vgprSerial] / 1
v_and_b32 v5, 15, v0                               // v5 = v0 % 16
                                                   // v5 = v5 * 1 (multiplier is 1, do nothing)
v_lshrrev_b32 v5, 1, v5                            // v5 = v5 / 2
v_lshlrev_b32 v3, 0x3, v3                          // v3 = v3 * 8
_v_add_co_u32 v5, vcc, v3, v5                      // tgbReg = (tid_coal * continOut) / GLVW
_v_sub_u32 v4, v4, v5                              // 

/* vwReg: glvw in which vw block? */
v_and_b32 v3, 0, v1                                // permute register between threads
v_lshrrev_b32 v3, 1, v3                            // permute register between threads

/* rReg : reminder of M_size % GlobalLoadVectorWidth */
v_and_b32 v5, 1, v1                                // v5 = v1 % 2
v_cmp_eq_u32 vcc, v5, 0x1                          // wgMT%VW == 1
s_cbranch_vccnz label_0037                         // branch to shift d1 r=1
s_branch label_0056                                // no shifting

/******************************************/
/* shift d1 r=1                           */
/******************************************/
label_0037:
v_cmp_eq_u32 vcc, v2, 0x0                          // 
s_cbranch_vccnz label_0038                         // branch to shift d1 r1 mb0
v_cmp_eq_u32 vcc, v2, 0x1                          // 
s_cbranch_vccnz label_0040                         // branch to shift d1 r1 mb1
v_cmp_eq_u32 vcc, v2, 0x2                          // 
s_cbranch_vccnz label_0042                         // branch to shift d1 r1 mb2
v_cmp_eq_u32 vcc, v2, 0x3                          // 
s_cbranch_vccnz label_0044                         // branch to shift d1 r1 mb3
v_cmp_eq_u32 vcc, v2, 0x4                          // 
s_cbranch_vccnz label_0046                         // branch to shift d1 r1 mb4
v_cmp_eq_u32 vcc, v2, 0x5                          // 
s_cbranch_vccnz label_0048                         // branch to shift d1 r1 mb5
v_cmp_eq_u32 vcc, v2, 0x6                          // 
s_cbranch_vccnz label_0050                         // branch to shift d1 r1 mb6
v_cmp_eq_u32 vcc, v2, 0x7                          // 
s_cbranch_vccnz label_0052                         // branch to shift d1 r1 mb7
v_cmp_eq_u32 vcc, v2, 0x8                          // 
s_cbranch_vccnz label_0054                         // branch to shift d1 r1 mb8

/******************************************/
/* shift d1 r=1 mb=0                      */
/******************************************/
label_0038: // r1 mb0 
v_cmp_eq_u32 vcc, v3, 0x0                          // 
s_cbranch_vccnz label_0039                         // branch to shift d1 r1 mb0 vw0

/******************************************/
/* shift d1 r=1 mb=1                      */
/******************************************/
label_0040: // r1 mb1 
v_cmp_eq_u32 vcc, v3, 0x0                          // 
s_cbranch_vccnz label_0041                         // branch to shift d1 r1 mb1 vw0

/******************************************/
/* shift d1 r=1 mb=2                      */
/******************************************/
label_0042: // r1 mb2 
v_cmp_eq_u32 vcc, v3, 0x0                          // 
s_cbranch_vccnz label_0043                         // branch to shift d1 r1 mb2 vw0

/******************************************/
/* shift d1 r=1 mb=3                      */
/******************************************/
label_0044: // r1 mb3 
v_cmp_eq_u32 vcc, v3, 0x0                          // 
s_cbranch_vccnz label_0045                         // branch to shift d1 r1 mb3 vw0

/******************************************/
/* shift d1 r=1 mb=4                      */
/******************************************/
label_0046: // r1 mb4 
v_cmp_eq_u32 vcc, v3, 0x0                          // 
s_cbranch_vccnz label_0047                         // branch to shift d1 r1 mb4 vw0

/******************************************/
/* shift d1 r=1 mb=5                      */
/******************************************/
label_0048: // r1 mb5 
v_cmp_eq_u32 vcc, v3, 0x0                          // 
s_cbranch_vccnz label_0049                         // branch to shift d1 r1 mb5 vw0

/******************************************/
/* shift d1 r=1 mb=6                      */
/******************************************/
label_0050: // r1 mb6 
v_cmp_eq_u32 vcc, v3, 0x0                          // 
s_cbranch_vccnz label_0051                         // branch to shift d1 r1 mb6 vw0

/******************************************/
/* shift d1 r=1 mb=7                      */
/******************************************/
label_0052: // r1 mb7 
v_cmp_eq_u32 vcc, v3, 0x0                          // 
s_cbranch_vccnz label_0053                         // branch to shift d1 r1 mb7 vw0

/******************************************/
/* shift d1 r=1 mb=8                      */
/******************************************/
label_0054: // r1 mb8 
v_cmp_eq_u32 vcc, v3, 0x0                          // 
s_cbranch_vccnz label_0055                         // branch to shift d1 r1 mb8 vw0

/******************************************/
/* shift d1 r=1 mb=0 vw0                  */
/******************************************/
label_0039: // r1 mb0 vw0 
s_mov_b32 s54, 0                                   // 
_v_cmpx_eq_u32 s[54:55], v4, s54                   // is thread in edge glvw region
v_and_b32 v0, 63, v[vgprSerial]                    // permute register between threads
v_lshlrev_b32 v0, 2, v0                            // permute register between threads
v_accvgpr_read_b32 v5, acc0                        // glvw 1 mb 0 tt1 0 r 0
s_nop 1                                            // v_accvgpr read vgpr after write vgpr: 2 wait states
ds_bpermute_b32 v5, v0, v5, offset:4               // permute edge values
s_waitcnt 0                                        // wait for swizzle operation
v_accvgpr_write_b32 acc0, v5                       // 
v_accvgpr_read_b32 v5, acc1                        // glvw 1 mb 0 tt1 1 r 0
s_nop 1                                            // v_accvgpr read vgpr after write vgpr: 2 wait states
ds_bpermute_b32 v5, v0, v5, offset:4               // permute edge values
s_waitcnt 0                                        // wait for swizzle operation
v_accvgpr_write_b32 acc1, v5                       // 
v_accvgpr_read_b32 v5, acc2                        // glvw 1 mb 0 tt1 2 r 0
s_nop 1                                            // v_accvgpr read vgpr after write vgpr: 2 wait states
ds_bpermute_b32 v5, v0, v5, offset:4               // permute edge values
s_waitcnt 0                                        // wait for swizzle operation
v_accvgpr_write_b32 acc2, v5                       // 
v_accvgpr_read_b32 v5, acc3                        // glvw 1 mb 0 tt1 3 r 0
s_nop 1                                            // v_accvgpr read vgpr after write vgpr: 2 wait states
ds_bpermute_b32 v5, v0, v5, offset:4               // permute edge values
s_waitcnt 0                                        // wait for swizzle operation
v_accvgpr_write_b32 acc3, v5                       // 
s_mov_b64 s[54:55], 0xFFFFFFFFFFFFFFFF             // to restore all threads active
s_or_saveexec_b64 vcc, s[54:55]                    // all threads active
s_branch label_0056                                // done shifting


/******************************************/
/* shift d1 r=1 mb=1 vw0                  */
/******************************************/
label_0041: // r1 mb1 vw0 
s_mov_b32 s54, 8                                   // 
_v_cmpx_eq_u32 s[54:55], v4, s54                   // is thread in edge glvw region
v_and_b32 v0, 63, v[vgprSerial]                    // permute register between threads
v_lshlrev_b32 v0, 2, v0                            // permute register between threads
v_accvgpr_read_b32 v5, acc4                        // glvw 1 mb 1 tt1 0 r 0
s_nop 1                                            // v_accvgpr read vgpr after write vgpr: 2 wait states
ds_bpermute_b32 v5, v0, v5, offset:4               // permute edge values
s_waitcnt 0                                        // wait for swizzle operation
v_accvgpr_write_b32 acc4, v5                       // 
v_accvgpr_read_b32 v5, acc5                        // glvw 1 mb 1 tt1 1 r 0
s_nop 1                                            // v_accvgpr read vgpr after write vgpr: 2 wait states
ds_bpermute_b32 v5, v0, v5, offset:4               // permute edge values
s_waitcnt 0                                        // wait for swizzle operation
v_accvgpr_write_b32 acc5, v5                       // 
v_accvgpr_read_b32 v5, acc6                        // glvw 1 mb 1 tt1 2 r 0
s_nop 1                                            // v_accvgpr read vgpr after write vgpr: 2 wait states
ds_bpermute_b32 v5, v0, v5, offset:4               // permute edge values
s_waitcnt 0                                        // wait for swizzle operation
v_accvgpr_write_b32 acc6, v5                       // 
v_accvgpr_read_b32 v5, acc7                        // glvw 1 mb 1 tt1 3 r 0
s_nop 1                                            // v_accvgpr read vgpr after write vgpr: 2 wait states
ds_bpermute_b32 v5, v0, v5, offset:4               // permute edge values
s_waitcnt 0                                        // wait for swizzle operation
v_accvgpr_write_b32 acc7, v5                       // 
s_mov_b64 s[54:55], 0xFFFFFFFFFFFFFFFF             // to restore all threads active
s_or_saveexec_b64 vcc, s[54:55]                    // all threads active
s_branch label_0056                                // done shifting


/******************************************/
/* shift d1 r=1 mb=2 vw0                  */
/******************************************/
label_0043: // r1 mb2 vw0 
s_mov_b32 s54, 16                                  // 
_v_cmpx_eq_u32 s[54:55], v4, s54                   // is thread in edge glvw region
v_and_b32 v0, 63, v[vgprSerial]                    // permute register between threads
v_lshlrev_b32 v0, 2, v0                            // permute register between threads
v_accvgpr_read_b32 v5, acc8                        // glvw 1 mb 2 tt1 0 r 0
s_nop 1                                            // v_accvgpr read vgpr after write vgpr: 2 wait states
ds_bpermute_b32 v5, v0, v5, offset:4               // permute edge values
s_waitcnt 0                                        // wait for swizzle operation
v_accvgpr_write_b32 acc8, v5                       // 
v_accvgpr_read_b32 v5, acc9                        // glvw 1 mb 2 tt1 1 r 0
s_nop 1                                            // v_accvgpr read vgpr after write vgpr: 2 wait states
ds_bpermute_b32 v5, v0, v5, offset:4               // permute edge values
s_waitcnt 0                                        // wait for swizzle operation
v_accvgpr_write_b32 acc9, v5                       // 
v_accvgpr_read_b32 v5, acc10                       // glvw 1 mb 2 tt1 2 r 0
s_nop 1                                            // v_accvgpr read vgpr after write vgpr: 2 wait states
ds_bpermute_b32 v5, v0, v5, offset:4               // permute edge values
s_waitcnt 0                                        // wait for swizzle operation
v_accvgpr_write_b32 acc10, v5                      // 
v_accvgpr_read_b32 v5, acc11                       // glvw 1 mb 2 tt1 3 r 0
s_nop 1                                            // v_accvgpr read vgpr after write vgpr: 2 wait states
ds_bpermute_b32 v5, v0, v5, offset:4               // permute edge values
s_waitcnt 0                                        // wait for swizzle operation
v_accvgpr_write_b32 acc11, v5                      // 
s_mov_b64 s[54:55], 0xFFFFFFFFFFFFFFFF             // to restore all threads active
s_or_saveexec_b64 vcc, s[54:55]                    // all threads active
s_branch label_0056                                // done shifting


/******************************************/
/* shift d1 r=1 mb=3 vw0                  */
/******************************************/
label_0045: // r1 mb3 vw0 
s_mov_b32 s54, 24                                  // 
_v_cmpx_eq_u32 s[54:55], v4, s54                   // is thread in edge glvw region
v_and_b32 v0, 63, v[vgprSerial]                    // permute register between threads
v_lshlrev_b32 v0, 2, v0                            // permute register between threads
v_accvgpr_read_b32 v5, acc12                       // glvw 1 mb 3 tt1 0 r 0
s_nop 1                                            // v_accvgpr read vgpr after write vgpr: 2 wait states
ds_bpermute_b32 v5, v0, v5, offset:4               // permute edge values
s_waitcnt 0                                        // wait for swizzle operation
v_accvgpr_write_b32 acc12, v5                      // 
v_accvgpr_read_b32 v5, acc13                       // glvw 1 mb 3 tt1 1 r 0
s_nop 1                                            // v_accvgpr read vgpr after write vgpr: 2 wait states
ds_bpermute_b32 v5, v0, v5, offset:4               // permute edge values
s_waitcnt 0                                        // wait for swizzle operation
v_accvgpr_write_b32 acc13, v5                      // 
v_accvgpr_read_b32 v5, acc14                       // glvw 1 mb 3 tt1 2 r 0
s_nop 1                                            // v_accvgpr read vgpr after write vgpr: 2 wait states
ds_bpermute_b32 v5, v0, v5, offset:4               // permute edge values
s_waitcnt 0                                        // wait for swizzle operation
v_accvgpr_write_b32 acc14, v5                      // 
v_accvgpr_read_b32 v5, acc15                       // glvw 1 mb 3 tt1 3 r 0
s_nop 1                                            // v_accvgpr read vgpr after write vgpr: 2 wait states
ds_bpermute_b32 v5, v0, v5, offset:4               // permute edge values
s_waitcnt 0                                        // wait for swizzle operation
v_accvgpr_write_b32 acc15, v5                      // 
s_mov_b64 s[54:55], 0xFFFFFFFFFFFFFFFF             // to restore all threads active
s_or_saveexec_b64 vcc, s[54:55]                    // all threads active
s_branch label_0056                                // done shifting


/******************************************/
/* shift d1 r=1 mb=4 vw0                  */
/******************************************/
label_0047: // r1 mb4 vw0 
s_mov_b32 s54, 32                                  // 
_v_cmpx_eq_u32 s[54:55], v4, s54                   // is thread in edge glvw region
v_and_b32 v0, 63, v[vgprSerial]                    // permute register between threads
v_lshlrev_b32 v0, 2, v0                            // permute register between threads
v_accvgpr_read_b32 v5, acc16                       // glvw 1 mb 4 tt1 0 r 0
s_nop 1                                            // v_accvgpr read vgpr after write vgpr: 2 wait states
ds_bpermute_b32 v5, v0, v5, offset:4               // permute edge values
s_waitcnt 0                                        // wait for swizzle operation
v_accvgpr_write_b32 acc16, v5                      // 
v_accvgpr_read_b32 v5, acc17                       // glvw 1 mb 4 tt1 1 r 0
s_nop 1                                            // v_accvgpr read vgpr after write vgpr: 2 wait states
ds_bpermute_b32 v5, v0, v5, offset:4               // permute edge values
s_waitcnt 0                                        // wait for swizzle operation
v_accvgpr_write_b32 acc17, v5                      // 
v_accvgpr_read_b32 v5, acc18                       // glvw 1 mb 4 tt1 2 r 0
s_nop 1                                            // v_accvgpr read vgpr after write vgpr: 2 wait states
ds_bpermute_b32 v5, v0, v5, offset:4               // permute edge values
s_waitcnt 0                                        // wait for swizzle operation
v_accvgpr_write_b32 acc18, v5                      // 
v_accvgpr_read_b32 v5, acc19                       // glvw 1 mb 4 tt1 3 r 0
s_nop 1                                            // v_accvgpr read vgpr after write vgpr: 2 wait states
ds_bpermute_b32 v5, v0, v5, offset:4               // permute edge values
s_waitcnt 0                                        // wait for swizzle operation
v_accvgpr_write_b32 acc19, v5                      // 
s_mov_b64 s[54:55], 0xFFFFFFFFFFFFFFFF             // to restore all threads active
s_or_saveexec_b64 vcc, s[54:55]                    // all threads active
s_branch label_0056                                // done shifting


/******************************************/
/* shift d1 r=1 mb=5 vw0                  */
/******************************************/
label_0049: // r1 mb5 vw0 
s_mov_b32 s54, 40                                  // 
_v_cmpx_eq_u32 s[54:55], v4, s54                   // is thread in edge glvw region
v_and_b32 v0, 63, v[vgprSerial]                    // permute register between threads
v_lshlrev_b32 v0, 2, v0                            // permute register between threads
v_accvgpr_read_b32 v5, acc20                       // glvw 1 mb 5 tt1 0 r 0
s_nop 1                                            // v_accvgpr read vgpr after write vgpr: 2 wait states
ds_bpermute_b32 v5, v0, v5, offset:4               // permute edge values
s_waitcnt 0                                        // wait for swizzle operation
v_accvgpr_write_b32 acc20, v5                      // 
v_accvgpr_read_b32 v5, acc21                       // glvw 1 mb 5 tt1 1 r 0
s_nop 1                                            // v_accvgpr read vgpr after write vgpr: 2 wait states
ds_bpermute_b32 v5, v0, v5, offset:4               // permute edge values
s_waitcnt 0                                        // wait for swizzle operation
v_accvgpr_write_b32 acc21, v5                      // 
v_accvgpr_read_b32 v5, acc22                       // glvw 1 mb 5 tt1 2 r 0
s_nop 1                                            // v_accvgpr read vgpr after write vgpr: 2 wait states
ds_bpermute_b32 v5, v0, v5, offset:4               // permute edge values
s_waitcnt 0                                        // wait for swizzle operation
v_accvgpr_write_b32 acc22, v5                      // 
v_accvgpr_read_b32 v5, acc23                       // glvw 1 mb 5 tt1 3 r 0
s_nop 1                                            // v_accvgpr read vgpr after write vgpr: 2 wait states
ds_bpermute_b32 v5, v0, v5, offset:4               // permute edge values
s_waitcnt 0                                        // wait for swizzle operation
v_accvgpr_write_b32 acc23, v5                      // 
s_mov_b64 s[54:55], 0xFFFFFFFFFFFFFFFF             // to restore all threads active
s_or_saveexec_b64 vcc, s[54:55]                    // all threads active
s_branch label_0056                                // done shifting


/******************************************/
/* shift d1 r=1 mb=6 vw0                  */
/******************************************/
label_0051: // r1 mb6 vw0 
s_mov_b32 s54, 48                                  // 
_v_cmpx_eq_u32 s[54:55], v4, s54                   // is thread in edge glvw region
v_and_b32 v0, 63, v[vgprSerial]                    // permute register between threads
v_lshlrev_b32 v0, 2, v0                            // permute register between threads
v_accvgpr_read_b32 v5, acc24                       // glvw 1 mb 6 tt1 0 r 0
s_nop 1                                            // v_accvgpr read vgpr after write vgpr: 2 wait states
ds_bpermute_b32 v5, v0, v5, offset:4               // permute edge values
s_waitcnt 0                                        // wait for swizzle operation
v_accvgpr_write_b32 acc24, v5                      // 
v_accvgpr_read_b32 v5, acc25                       // glvw 1 mb 6 tt1 1 r 0
s_nop 1                                            // v_accvgpr read vgpr after write vgpr: 2 wait states
ds_bpermute_b32 v5, v0, v5, offset:4               // permute edge values
s_waitcnt 0                                        // wait for swizzle operation
v_accvgpr_write_b32 acc25, v5                      // 
v_accvgpr_read_b32 v5, acc26                       // glvw 1 mb 6 tt1 2 r 0
s_nop 1                                            // v_accvgpr read vgpr after write vgpr: 2 wait states
ds_bpermute_b32 v5, v0, v5, offset:4               // permute edge values
s_waitcnt 0                                        // wait for swizzle operation
v_accvgpr_write_b32 acc26, v5                      // 
v_accvgpr_read_b32 v5, acc27                       // glvw 1 mb 6 tt1 3 r 0
s_nop 1                                            // v_accvgpr read vgpr after write vgpr: 2 wait states
ds_bpermute_b32 v5, v0, v5, offset:4               // permute edge values
s_waitcnt 0                                        // wait for swizzle operation
v_accvgpr_write_b32 acc27, v5                      // 
s_mov_b64 s[54:55], 0xFFFFFFFFFFFFFFFF             // to restore all threads active
s_or_saveexec_b64 vcc, s[54:55]                    // all threads active
s_branch label_0056                                // done shifting


/******************************************/
/* shift d1 r=1 mb=7 vw0                  */
/******************************************/
label_0053: // r1 mb7 vw0 
s_mov_b32 s54, 56                                  // 
_v_cmpx_eq_u32 s[54:55], v4, s54                   // is thread in edge glvw region
v_and_b32 v0, 63, v[vgprSerial]                    // permute register between threads
v_lshlrev_b32 v0, 2, v0                            // permute register between threads
v_accvgpr_read_b32 v5, acc28                       // glvw 1 mb 7 tt1 0 r 0
s_nop 1                                            // v_accvgpr read vgpr after write vgpr: 2 wait states
ds_bpermute_b32 v5, v0, v5, offset:4               // permute edge values
s_waitcnt 0                                        // wait for swizzle operation
v_accvgpr_write_b32 acc28, v5                      // 
v_accvgpr_read_b32 v5, acc29                       // glvw 1 mb 7 tt1 1 r 0
s_nop 1                                            // v_accvgpr read vgpr after write vgpr: 2 wait states
ds_bpermute_b32 v5, v0, v5, offset:4               // permute edge values
s_waitcnt 0                                        // wait for swizzle operation
v_accvgpr_write_b32 acc29, v5                      // 
v_accvgpr_read_b32 v5, acc30                       // glvw 1 mb 7 tt1 2 r 0
s_nop 1                                            // v_accvgpr read vgpr after write vgpr: 2 wait states
ds_bpermute_b32 v5, v0, v5, offset:4               // permute edge values
s_waitcnt 0                                        // wait for swizzle operation
v_accvgpr_write_b32 acc30, v5                      // 
v_accvgpr_read_b32 v5, acc31                       // glvw 1 mb 7 tt1 3 r 0
s_nop 1                                            // v_accvgpr read vgpr after write vgpr: 2 wait states
ds_bpermute_b32 v5, v0, v5, offset:4               // permute edge values
s_waitcnt 0                                        // wait for swizzle operation
v_accvgpr_write_b32 acc31, v5                      // 
s_mov_b64 s[54:55], 0xFFFFFFFFFFFFFFFF             // to restore all threads active
s_or_saveexec_b64 vcc, s[54:55]                    // all threads active
s_branch label_0056                                // done shifting


/******************************************/
/* shift d1 r=1 mb=8 vw0                  */
/******************************************/
label_0055: // r1 mb8 vw0 
s_mov_b32 s54, 64                                  // 
_v_cmpx_eq_u32 s[54:55], v4, s54                   // is thread in edge glvw region
v_and_b32 v0, 63, v[vgprSerial]                    // permute register between threads
v_lshlrev_b32 v0, 2, v0                            // permute register between threads
v_accvgpr_read_b32 v5, acc32                       // glvw 1 mb 8 tt1 0 r 0
s_nop 1                                            // v_accvgpr read vgpr after write vgpr: 2 wait states
ds_bpermute_b32 v5, v0, v5, offset:4               // permute edge values
s_waitcnt 0                                        // wait for swizzle operation
v_accvgpr_write_b32 acc32, v5                      // 
v_accvgpr_read_b32 v5, acc33                       // glvw 1 mb 8 tt1 1 r 0
s_nop 1                                            // v_accvgpr read vgpr after write vgpr: 2 wait states
ds_bpermute_b32 v5, v0, v5, offset:4               // permute edge values
s_waitcnt 0                                        // wait for swizzle operation
v_accvgpr_write_b32 acc33, v5                      // 
v_accvgpr_read_b32 v5, acc34                       // glvw 1 mb 8 tt1 2 r 0
s_nop 1                                            // v_accvgpr read vgpr after write vgpr: 2 wait states
ds_bpermute_b32 v5, v0, v5, offset:4               // permute edge values
s_waitcnt 0                                        // wait for swizzle operation
v_accvgpr_write_b32 acc34, v5                      // 
v_accvgpr_read_b32 v5, acc35                       // glvw 1 mb 8 tt1 3 r 0
s_nop 1                                            // v_accvgpr read vgpr after write vgpr: 2 wait states
ds_bpermute_b32 v5, v0, v5, offset:4               // permute edge values
s_waitcnt 0                                        // wait for swizzle operation
v_accvgpr_write_b32 acc35, v5                      // 
s_mov_b64 s[54:55], 0xFFFFFFFFFFFFFFFF             // to restore all threads active
s_or_saveexec_b64 vcc, s[54:55]                    // all threads active
s_branch label_0056                                // done shifting

label_0056: // end shift0



/* not-LocalSplitU: global write indices */

/* computeStoreVgprs */
v_lshrrev_b32 v4, 6, v[vgprSerial]                 // v4 = v[vgprSerial] / 64
v_lshrrev_b32 v1, 2, v4                            // v1 = v4 / 4
v_mul_lo_u32 v1, 0x10, v1                          // wave coordination offset 1
v_and_b32 v5, 15, v[vgprSerial]                    // v5 = v[vgprSerial] % 16
_v_add_lshl_u32 v1, v5, v1, 0                      // coordination 1 = vwb *(wave_id1 + tid1)
v_mul_lo_u32 v2, v1, s[sgprStrideC1J]              //  offset 1
v_mul_lo_u32 v3, v1, s[sgprStrideD1J]              //  offset 1
v_and_b32 v0, 63, v[vgprSerial]                    // v0 = v[vgprSerial] % 64
v_lshrrev_b32 v0, 4, v0                            // v0 = v0 / 16
v_lshlrev_b32 v0, 0x2, v0                          // thread0 * continuous_output
v_and_b32 v5, 3, v4                                // v5 = v4 % 4
v_mul_lo_u32 v5, 0x10, v5                          // wave coordination offset 0
_v_add_lshl_u32 v0, v5, v0, 0                      // coordination 0 = vwa *(wave_id0 + tid0)
s_mul_i32 s53, 64, s[sgprWorkGroup0]               // wgp0 * MT0
_v_add_u32 v0, s53, v0                             // coord 0 = (tid0/MI_m)*4 + waveG0*MIB_m + MT0*SG0
s_mul_i32 s53, 144, s[sgprWorkGroup1]              // wgp1 * MT1
_v_add_u32 v1, s53, v1                             // coord 1 = (tid0%MI_m) + waveG1*MIB_n + MT1*SG1
/* Store Remap Local Write address */
v_lshrrev_b32 v5, 8, v[vgprSerial]                 // v5 = v[vgprSerial] / 256
v_and_b32 v4, 255, v[vgprSerial]                   // v4 = v[vgprSerial] % 256
v_mul_lo_u32 v13, 0x10, v5                         // coord1 offset of LDS for each Wave
v_and_b32 v5, 0xf, v[vgprSerial]                   // coord1 offset of LDS for each thread
_v_add_u32 v5, v13, v5                             // coord1 offset in MacroTile
v_mov_b32 v11, 0x44                                // lds stride = MT0 + PAD
v_mul_lo_u32 v9, v5, v11                           // lds coord1 offset = Col-id* lds stride
v_lshrrev_b32 v10, 6, v4                           // v10 = v4 / 64
v_and_b32 v4, 63, v4                               // v4 = v4 % 64
v_lshrrev_b32 v12, 0x4, v4                         // tid / matrixInstN
v_lshlrev_b32 v12, 0x2, v12                        // lds coord0 offset *= 4 (each thread hold 4 element)
v_mad_u32_u24 v12, 16, v10, v12                    // coord0 += waveCoord0 * wave M shape(blockM*MiM)
_v_add_lshl_u32 v7, v9, v12, 0x1                   // local write C address

/* Store Remap Local Read address */
v_lshrrev_b32 v5, 6, v[vgprSerial]                 // v5 = v[vgprSerial] / 64
v_and_b32 v4, 63, v[vgprSerial]                    // v4 = v[vgprSerial] % 64
v_mul_lo_u32 v13, 0x4, v5                          // coord1 offset of LDS for each Wave
v_lshrrev_b32 v10, 0x4, v4                         // tid / nThreadPerCol
_v_add_u32 v6, v13, v10                            // coord1 offset in MacroTile
v_mul_lo_u32 v9, v6, v11                           // lds coord1 offset = Col-id* lds stride
v_and_b32 v12, 0xf, v4                             // coord0 offset of LDS for each thread
v_lshlrev_b32 v12, 0x2, v12                        // lds coord0 offset *= gwvw (each thread hold gwvw element)
_v_add_lshl_u32 v8, v9, v12, 0x1                   // local read C address

/* Store Remap global write coord0 and coord1 */
v_lshrrev_b32 v5, 8, v[vgprSerial]                 // v5 = v[vgprSerial] / 256
v_and_b32 v4, 255, v[vgprSerial]                   // v4 = v[vgprSerial] % 256
v_mul_lo_u32 v13, 0x10, v5                         // coord1 offset of global memory for each Wave
v_lshrrev_b32 v5, 6, v4                            // v5 = v4 / 64
v_and_b32 v4, 63, v4                               // v4 = v4 % 64
v_mad_u32_u24 v13, 4, v5, v13                      // waveCoord1 += waveCoord0 * MiN / WaveGroupM
v_lshrrev_b32 v10, 0x4, v4                         // tid / nThreadPerCol
_v_add_u32 v6, v13, v10                            // coord1 offset in MacroTile
s_mul_i32 s54, 0x40, s[sgprWorkGroup0]             // s54 = wg0*MT0
_v_add_co_u32 v4, vcc, s54, v12                    // coord0 = coord0 + wg0 * MT0
s_mul_i32 s55, MT1, s[sgprWorkGroup1]              // <- wg1*MT1
_v_add_co_u32 v5, vcc, s55, v6                     // coord1 = tid1*VW + wg1*MT1

s_waitcnt lgkmcnt(0) & vmcnt(0)                    // force waitcnt0
s_barrier //StoreRemap Start


/* not-LocalSplitU: global write */

s_cmpk_eq_u32 s[sgprBeta], 0x0                     // Beta == 0
s_cbranch_scc0 GW_Beta_89                          // Branch if Beta is not zero

s_and_b32 s54, 63, s[sgprSizeI]                    // s54 = s[sgprSizeI] % 64
s_add_u32 s55, -0x1, s[sgprNumWorkGroups0]         // 
s_cmp_ge_u32 s[sgprWorkGroup0], s55                // wg0 >= nwg0-1 ?
s_cselect_b32 s54, s54, 0                          // set rMT0
s_cmpk_gt_u32 s54, 0x0                             // rMT0 > 0
s_cbranch_scc1 GW_B0_E1_80                         // jump if edges required
s_mov_b32 s57, 0x0                                 // STATIC_DIV: divisior=144
s_mul_i32 s56, 0x38e, s[sgprSizeJ]                 // tmp1 = dividend * magic hi
s_lshl_b64 s[56:57], s[56:57], 0x10                // left shift 16 bits
s_mul_i32 s55, s[sgprSizeJ], 0x38e4                // tmp0 = dividend * magic lo
s_add_u32 s56, s55, s56                            // add lo
s_addc_u32 s57, s57, 0x0                           // add hi
s_lshr_b64 s[56:57], s[56:57], 0x21                // tmp1 = (dividend * magic) << shift
s_mov_b32 s55, s56                                 // quotient
s_mul_i32 s56, s55, 0x90                           // quotient*divisor
s_sub_u32 s54, s[sgprSizeJ], s56                   // rReg = dividend - quotient*divisor
s_add_u32 s55, -0x1, s[sgprNumWorkGroups1]         // 
s_cmp_ge_u32 s[sgprWorkGroup1], s55                // wg1 >= nwg1-1
s_cselect_b32 s54, s54, 0                          // set rMT1
s_cmpk_gt_u32 s54, 0x0                             // rMT1 > 0
s_cbranch_scc1 GW_B0_E1_80                         // jump if edges required
GW_B0_E0_77:

/* edge=0, allocate 2 sgpr. perBatchTmpS=2 perBatchMaskS=0 perElementMaskS=0 elementsPerBatch=1 */
/* optSingleColVgpr=1 optSharedColVgpr=0 optSGPRUsage=BufferLoad_Mask optSrdIncForRow=1 */

/******************************************/
/* Global Write Alpha Batch #0 (d1,d0,vc1,vc0) = */
/*    (0,0,0,0:vw4)                       */
/******************************************/

/* calc coords, apply mask, and issue loads (if necessary) */
/* (d1,vc1,d0,vc0)=(0,0,0,0) */
_v_add_lshl_u32 v9, v3, v0, 0x1                    // optSingleColVgpr scaleToBpe: sharedAddrVgpr <- cinRowPtr + coord0, scaled by BPE. BSHERE:coord0=0, coord0Vgpr=0
v_accvgpr_read_b32 v[vgprValuC+16], acc0 // copy acc to vreg[0]
v_accvgpr_read_b32 v[vgprValuC+17], acc1 // copy acc to vreg[1]
v_accvgpr_read_b32 v[vgprValuC+18], acc2 // copy acc to vreg[2]
v_accvgpr_read_b32 v[vgprValuC+19], acc3 // copy acc to vreg[3]
s_nop 1                                            // 2 wait states required before reading vgpr

/* rC *= alpha batchElements=[(0, 0, 0, 0)] */
v_mul_f32 v[vgprValuC+16], s[sgprAlpha], v[vgprValuC+16] // *= alpha
v_mul_f32 v[vgprValuC+17], s[sgprAlpha], v[vgprValuC+17] // *= alpha
	;; [unrolled: 1-line block ×4, first 2 shown]

/* apply mask, calc new C and issue writes */
v_cvt_f16_f32 v[vgprValuC+16], v[vgprValuC+16]     // convert C to fp16
v_cvt_f16_f32 v[vgprValuC+17], v[vgprValuC+17]     // convert C to fp16
v_pack_b32_f16 v16, v[vgprValuC+16], v[vgprValuC+17] // Pack with neighbor
v_cvt_f16_f32 v[vgprValuC+18], v[vgprValuC+18]     // convert C to fp16
v_cvt_f16_f32 v[vgprValuC+19], v[vgprValuC+19]     // convert C to fp16
v_pack_b32_f16 v17, v[vgprValuC+18], v[vgprValuC+19] // Pack with neighbor
_ds_store_b64 v7, v[16:17], offset:0               // storeRemap lw

/* Handle local read and global write */
s_waitcnt lgkmcnt(0)                               // wait for LDS write
s_barrier //wait all lds write finished

_ds_load_b64 v[14:15], v8, offset:0                // storeRemap lr

v_mov_b32 v13, v6                                  // coord1
v_mul_lo_u32 v13, v13, s[sgprStrideD1J]            // coord1 offset =  coord1 * StrideD
_v_add_lshl_u32 v13, v13, v4, 0x1                  // global write D address
s_waitcnt lgkmcnt(0)                               // wait for LDS read
_buffer_store_b64 v[14:15], v13, s[sgprSrdD:sgprSrdD+3], 0, offen, offset:0 // store D

s_barrier //wait all lds read finished
s_nop 0                                            // 1 wait state required when next inst writes vgprs held by previous dwordx4 store inst
/* optSingleColVgpr=1 optSharedColVgpr=0 optSGPRUsage=BufferLoad_Mask optSrdIncForRow=1 */

/******************************************/
/* Global Write Alpha Batch #1 (d1,d0,vc1,vc0) = */
/*    (1,0,0,0:vw4)                       */
/******************************************/

/* calc coords, apply mask, and issue loads (if necessary) */
/* (d1,vc1,d0,vc0)=(1,0,0,0) */
v_accvgpr_read_b32 v[vgprValuC+16], acc4 // copy acc to vreg[4]
v_accvgpr_read_b32 v[vgprValuC+17], acc5 // copy acc to vreg[5]
v_accvgpr_read_b32 v[vgprValuC+18], acc6 // copy acc to vreg[6]
v_accvgpr_read_b32 v[vgprValuC+19], acc7 // copy acc to vreg[7]
s_nop 1                                            // 2 wait states required before reading vgpr

/* rC *= alpha batchElements=[(1, 0, 0, 0)] */
v_mul_f32 v[vgprValuC+16], s[sgprAlpha], v[vgprValuC+16] // *= alpha
v_mul_f32 v[vgprValuC+17], s[sgprAlpha], v[vgprValuC+17] // *= alpha
	;; [unrolled: 1-line block ×4, first 2 shown]

/* apply mask, calc new C and issue writes */

/* StoreRemap: shift coord1 address */
s_mul_i32 s54, s[sgprStrideD1J], 32                // scale StrideD *= numRows(16) * bpe
s_add_u32  s[sgprSrdD+0], s[sgprSrdD+0], s54       // incToNextRow: gra SRD += inc(lower)
s_addc_u32  s[sgprSrdD+1], s[sgprSrdD+1], 0        // incToNextRow: gra SRD += inc(upper)
v_mov_b32 v10, 16                                  // set shift rows
_v_add_u32 v5, v5, v10                             // shift storeRemap coord1
v_cvt_f16_f32 v[vgprValuC+16], v[vgprValuC+16]     // convert C to fp16
v_cvt_f16_f32 v[vgprValuC+17], v[vgprValuC+17]     // convert C to fp16
v_pack_b32_f16 v16, v[vgprValuC+16], v[vgprValuC+17] // Pack with neighbor
v_cvt_f16_f32 v[vgprValuC+18], v[vgprValuC+18]     // convert C to fp16
v_cvt_f16_f32 v[vgprValuC+19], v[vgprValuC+19]     // convert C to fp16
v_pack_b32_f16 v17, v[vgprValuC+18], v[vgprValuC+19] // Pack with neighbor
_ds_store_b64 v7, v[16:17], offset:0               // storeRemap lw

/* Handle local read and global write */
s_waitcnt lgkmcnt(0)                               // wait for LDS write
s_barrier //wait all lds write finished

_ds_load_b64 v[14:15], v8, offset:0                // storeRemap lr

v_mov_b32 v13, v6                                  // coord1
v_mul_lo_u32 v13, v13, s[sgprStrideD1J]            // coord1 offset =  coord1 * StrideD
_v_add_lshl_u32 v13, v13, v4, 0x1                  // global write D address
s_waitcnt lgkmcnt(0)                               // wait for LDS read
_buffer_store_b64 v[14:15], v13, s[sgprSrdD:sgprSrdD+3], 0, offen, offset:0 // store D

s_barrier //wait all lds read finished
s_nop 0                                            // 1 wait state required when next inst writes vgprs held by previous dwordx4 store inst
/* optSingleColVgpr=1 optSharedColVgpr=0 optSGPRUsage=BufferLoad_Mask optSrdIncForRow=1 */

/******************************************/
/* Global Write Alpha Batch #2 (d1,d0,vc1,vc0) = */
/*    (2,0,0,0:vw4)                       */
/******************************************/

/* calc coords, apply mask, and issue loads (if necessary) */
/* (d1,vc1,d0,vc0)=(2,0,0,0) */
v_accvgpr_read_b32 v[vgprValuC+16], acc8 // copy acc to vreg[8]
v_accvgpr_read_b32 v[vgprValuC+17], acc9 // copy acc to vreg[9]
v_accvgpr_read_b32 v[vgprValuC+18], acc10 // copy acc to vreg[10]
v_accvgpr_read_b32 v[vgprValuC+19], acc11 // copy acc to vreg[11]
s_nop 1                                            // 2 wait states required before reading vgpr

/* rC *= alpha batchElements=[(2, 0, 0, 0)] */
v_mul_f32 v[vgprValuC+16], s[sgprAlpha], v[vgprValuC+16] // *= alpha
v_mul_f32 v[vgprValuC+17], s[sgprAlpha], v[vgprValuC+17] // *= alpha
	;; [unrolled: 1-line block ×4, first 2 shown]

/* apply mask, calc new C and issue writes */

/* StoreRemap: shift coord1 address */
s_mul_i32 s54, s[sgprStrideD1J], 32                // scale StrideD *= numRows(16) * bpe
s_add_u32  s[sgprSrdD+0], s[sgprSrdD+0], s54       // incToNextRow: gra SRD += inc(lower)
s_addc_u32  s[sgprSrdD+1], s[sgprSrdD+1], 0        // incToNextRow: gra SRD += inc(upper)
v_mov_b32 v10, 16                                  // set shift rows
_v_add_u32 v5, v5, v10                             // shift storeRemap coord1
v_cvt_f16_f32 v[vgprValuC+16], v[vgprValuC+16]     // convert C to fp16
v_cvt_f16_f32 v[vgprValuC+17], v[vgprValuC+17]     // convert C to fp16
v_pack_b32_f16 v16, v[vgprValuC+16], v[vgprValuC+17] // Pack with neighbor
v_cvt_f16_f32 v[vgprValuC+18], v[vgprValuC+18]     // convert C to fp16
v_cvt_f16_f32 v[vgprValuC+19], v[vgprValuC+19]     // convert C to fp16
v_pack_b32_f16 v17, v[vgprValuC+18], v[vgprValuC+19] // Pack with neighbor
_ds_store_b64 v7, v[16:17], offset:0               // storeRemap lw

/* Handle local read and global write */
s_waitcnt lgkmcnt(0)                               // wait for LDS write
s_barrier //wait all lds write finished

_ds_load_b64 v[14:15], v8, offset:0                // storeRemap lr

v_mov_b32 v13, v6                                  // coord1
v_mul_lo_u32 v13, v13, s[sgprStrideD1J]            // coord1 offset =  coord1 * StrideD
_v_add_lshl_u32 v13, v13, v4, 0x1                  // global write D address
s_waitcnt lgkmcnt(0)                               // wait for LDS read
_buffer_store_b64 v[14:15], v13, s[sgprSrdD:sgprSrdD+3], 0, offen, offset:0 // store D

s_barrier //wait all lds read finished
s_nop 0                                            // 1 wait state required when next inst writes vgprs held by previous dwordx4 store inst
/* optSingleColVgpr=1 optSharedColVgpr=0 optSGPRUsage=BufferLoad_Mask optSrdIncForRow=1 */

/******************************************/
/* Global Write Alpha Batch #3 (d1,d0,vc1,vc0) = */
/*    (3,0,0,0:vw4)                       */
/******************************************/

/* calc coords, apply mask, and issue loads (if necessary) */
/* (d1,vc1,d0,vc0)=(3,0,0,0) */
v_accvgpr_read_b32 v[vgprValuC+16], acc12 // copy acc to vreg[12]
v_accvgpr_read_b32 v[vgprValuC+17], acc13 // copy acc to vreg[13]
v_accvgpr_read_b32 v[vgprValuC+18], acc14 // copy acc to vreg[14]
v_accvgpr_read_b32 v[vgprValuC+19], acc15 // copy acc to vreg[15]
s_nop 1                                            // 2 wait states required before reading vgpr

/* rC *= alpha batchElements=[(3, 0, 0, 0)] */
v_mul_f32 v[vgprValuC+16], s[sgprAlpha], v[vgprValuC+16] // *= alpha
v_mul_f32 v[vgprValuC+17], s[sgprAlpha], v[vgprValuC+17] // *= alpha
	;; [unrolled: 1-line block ×4, first 2 shown]

/* apply mask, calc new C and issue writes */

/* StoreRemap: shift coord1 address */
s_mul_i32 s54, s[sgprStrideD1J], 32                // scale StrideD *= numRows(16) * bpe
s_add_u32  s[sgprSrdD+0], s[sgprSrdD+0], s54       // incToNextRow: gra SRD += inc(lower)
s_addc_u32  s[sgprSrdD+1], s[sgprSrdD+1], 0        // incToNextRow: gra SRD += inc(upper)
v_mov_b32 v10, 16                                  // set shift rows
_v_add_u32 v5, v5, v10                             // shift storeRemap coord1
v_cvt_f16_f32 v[vgprValuC+16], v[vgprValuC+16]     // convert C to fp16
v_cvt_f16_f32 v[vgprValuC+17], v[vgprValuC+17]     // convert C to fp16
v_pack_b32_f16 v16, v[vgprValuC+16], v[vgprValuC+17] // Pack with neighbor
v_cvt_f16_f32 v[vgprValuC+18], v[vgprValuC+18]     // convert C to fp16
v_cvt_f16_f32 v[vgprValuC+19], v[vgprValuC+19]     // convert C to fp16
v_pack_b32_f16 v17, v[vgprValuC+18], v[vgprValuC+19] // Pack with neighbor
_ds_store_b64 v7, v[16:17], offset:0               // storeRemap lw

/* Handle local read and global write */
s_waitcnt lgkmcnt(0)                               // wait for LDS write
s_barrier //wait all lds write finished

_ds_load_b64 v[14:15], v8, offset:0                // storeRemap lr

v_mov_b32 v13, v6                                  // coord1
v_mul_lo_u32 v13, v13, s[sgprStrideD1J]            // coord1 offset =  coord1 * StrideD
_v_add_lshl_u32 v13, v13, v4, 0x1                  // global write D address
s_waitcnt lgkmcnt(0)                               // wait for LDS read
_buffer_store_b64 v[14:15], v13, s[sgprSrdD:sgprSrdD+3], 0, offen, offset:0 // store D

s_barrier //wait all lds read finished
s_nop 0                                            // 1 wait state required when next inst writes vgprs held by previous dwordx4 store inst
/* optSingleColVgpr=1 optSharedColVgpr=0 optSGPRUsage=BufferLoad_Mask optSrdIncForRow=1 */

/******************************************/
/* Global Write Alpha Batch #4 (d1,d0,vc1,vc0) = */
/*    (4,0,0,0:vw4)                       */
/******************************************/

/* calc coords, apply mask, and issue loads (if necessary) */
/* (d1,vc1,d0,vc0)=(4,0,0,0) */
v_accvgpr_read_b32 v[vgprValuC+16], acc16 // copy acc to vreg[16]
v_accvgpr_read_b32 v[vgprValuC+17], acc17 // copy acc to vreg[17]
v_accvgpr_read_b32 v[vgprValuC+18], acc18 // copy acc to vreg[18]
v_accvgpr_read_b32 v[vgprValuC+19], acc19 // copy acc to vreg[19]
s_nop 1                                            // 2 wait states required before reading vgpr

/* rC *= alpha batchElements=[(4, 0, 0, 0)] */
v_mul_f32 v[vgprValuC+16], s[sgprAlpha], v[vgprValuC+16] // *= alpha
v_mul_f32 v[vgprValuC+17], s[sgprAlpha], v[vgprValuC+17] // *= alpha
	;; [unrolled: 1-line block ×4, first 2 shown]

/* apply mask, calc new C and issue writes */

/* StoreRemap: shift coord1 address */
s_mul_i32 s54, s[sgprStrideD1J], 32                // scale StrideD *= numRows(16) * bpe
s_add_u32  s[sgprSrdD+0], s[sgprSrdD+0], s54       // incToNextRow: gra SRD += inc(lower)
s_addc_u32  s[sgprSrdD+1], s[sgprSrdD+1], 0        // incToNextRow: gra SRD += inc(upper)
v_mov_b32 v10, 16                                  // set shift rows
_v_add_u32 v5, v5, v10                             // shift storeRemap coord1
v_cvt_f16_f32 v[vgprValuC+16], v[vgprValuC+16]     // convert C to fp16
v_cvt_f16_f32 v[vgprValuC+17], v[vgprValuC+17]     // convert C to fp16
v_pack_b32_f16 v16, v[vgprValuC+16], v[vgprValuC+17] // Pack with neighbor
v_cvt_f16_f32 v[vgprValuC+18], v[vgprValuC+18]     // convert C to fp16
v_cvt_f16_f32 v[vgprValuC+19], v[vgprValuC+19]     // convert C to fp16
v_pack_b32_f16 v17, v[vgprValuC+18], v[vgprValuC+19] // Pack with neighbor
_ds_store_b64 v7, v[16:17], offset:0               // storeRemap lw

/* Handle local read and global write */
s_waitcnt lgkmcnt(0)                               // wait for LDS write
s_barrier //wait all lds write finished

_ds_load_b64 v[14:15], v8, offset:0                // storeRemap lr

v_mov_b32 v13, v6                                  // coord1
v_mul_lo_u32 v13, v13, s[sgprStrideD1J]            // coord1 offset =  coord1 * StrideD
_v_add_lshl_u32 v13, v13, v4, 0x1                  // global write D address
s_waitcnt lgkmcnt(0)                               // wait for LDS read
_buffer_store_b64 v[14:15], v13, s[sgprSrdD:sgprSrdD+3], 0, offen, offset:0 // store D

s_barrier //wait all lds read finished
s_nop 0                                            // 1 wait state required when next inst writes vgprs held by previous dwordx4 store inst
/* optSingleColVgpr=1 optSharedColVgpr=0 optSGPRUsage=BufferLoad_Mask optSrdIncForRow=1 */

/******************************************/
/* Global Write Alpha Batch #5 (d1,d0,vc1,vc0) = */
/*    (5,0,0,0:vw4)                       */
/******************************************/

/* calc coords, apply mask, and issue loads (if necessary) */
/* (d1,vc1,d0,vc0)=(5,0,0,0) */
v_accvgpr_read_b32 v[vgprValuC+16], acc20 // copy acc to vreg[20]
v_accvgpr_read_b32 v[vgprValuC+17], acc21 // copy acc to vreg[21]
v_accvgpr_read_b32 v[vgprValuC+18], acc22 // copy acc to vreg[22]
v_accvgpr_read_b32 v[vgprValuC+19], acc23 // copy acc to vreg[23]
s_nop 1                                            // 2 wait states required before reading vgpr

/* rC *= alpha batchElements=[(5, 0, 0, 0)] */
v_mul_f32 v[vgprValuC+16], s[sgprAlpha], v[vgprValuC+16] // *= alpha
v_mul_f32 v[vgprValuC+17], s[sgprAlpha], v[vgprValuC+17] // *= alpha
v_mul_f32 v[vgprValuC+18], s[sgprAlpha], v[vgprValuC+18] // *= alpha
v_mul_f32 v[vgprValuC+19], s[sgprAlpha], v[vgprValuC+19] // *= alpha

/* apply mask, calc new C and issue writes */

/* StoreRemap: shift coord1 address */
s_mul_i32 s54, s[sgprStrideD1J], 32                // scale StrideD *= numRows(16) * bpe
s_add_u32  s[sgprSrdD+0], s[sgprSrdD+0], s54       // incToNextRow: gra SRD += inc(lower)
s_addc_u32  s[sgprSrdD+1], s[sgprSrdD+1], 0        // incToNextRow: gra SRD += inc(upper)
v_mov_b32 v10, 16                                  // set shift rows
_v_add_u32 v5, v5, v10                             // shift storeRemap coord1
v_cvt_f16_f32 v[vgprValuC+16], v[vgprValuC+16]     // convert C to fp16
v_cvt_f16_f32 v[vgprValuC+17], v[vgprValuC+17]     // convert C to fp16
v_pack_b32_f16 v16, v[vgprValuC+16], v[vgprValuC+17] // Pack with neighbor
v_cvt_f16_f32 v[vgprValuC+18], v[vgprValuC+18]     // convert C to fp16
v_cvt_f16_f32 v[vgprValuC+19], v[vgprValuC+19]     // convert C to fp16
v_pack_b32_f16 v17, v[vgprValuC+18], v[vgprValuC+19] // Pack with neighbor
_ds_store_b64 v7, v[16:17], offset:0               // storeRemap lw

/* Handle local read and global write */
s_waitcnt lgkmcnt(0)                               // wait for LDS write
s_barrier //wait all lds write finished

_ds_load_b64 v[14:15], v8, offset:0                // storeRemap lr

v_mov_b32 v13, v6                                  // coord1
v_mul_lo_u32 v13, v13, s[sgprStrideD1J]            // coord1 offset =  coord1 * StrideD
_v_add_lshl_u32 v13, v13, v4, 0x1                  // global write D address
s_waitcnt lgkmcnt(0)                               // wait for LDS read
_buffer_store_b64 v[14:15], v13, s[sgprSrdD:sgprSrdD+3], 0, offen, offset:0 // store D

s_barrier //wait all lds read finished
s_nop 0                                            // 1 wait state required when next inst writes vgprs held by previous dwordx4 store inst
/* optSingleColVgpr=1 optSharedColVgpr=0 optSGPRUsage=BufferLoad_Mask optSrdIncForRow=1 */

/******************************************/
/* Global Write Alpha Batch #6 (d1,d0,vc1,vc0) = */
/*    (6,0,0,0:vw4)                       */
/******************************************/

/* calc coords, apply mask, and issue loads (if necessary) */
/* (d1,vc1,d0,vc0)=(6,0,0,0) */
v_accvgpr_read_b32 v[vgprValuC+16], acc24 // copy acc to vreg[24]
v_accvgpr_read_b32 v[vgprValuC+17], acc25 // copy acc to vreg[25]
v_accvgpr_read_b32 v[vgprValuC+18], acc26 // copy acc to vreg[26]
v_accvgpr_read_b32 v[vgprValuC+19], acc27 // copy acc to vreg[27]
s_nop 1                                            // 2 wait states required before reading vgpr

/* rC *= alpha batchElements=[(6, 0, 0, 0)] */
v_mul_f32 v[vgprValuC+16], s[sgprAlpha], v[vgprValuC+16] // *= alpha
v_mul_f32 v[vgprValuC+17], s[sgprAlpha], v[vgprValuC+17] // *= alpha
	;; [unrolled: 1-line block ×4, first 2 shown]

/* apply mask, calc new C and issue writes */

/* StoreRemap: shift coord1 address */
s_mul_i32 s54, s[sgprStrideD1J], 32                // scale StrideD *= numRows(16) * bpe
s_add_u32  s[sgprSrdD+0], s[sgprSrdD+0], s54       // incToNextRow: gra SRD += inc(lower)
s_addc_u32  s[sgprSrdD+1], s[sgprSrdD+1], 0        // incToNextRow: gra SRD += inc(upper)
v_mov_b32 v10, 16                                  // set shift rows
_v_add_u32 v5, v5, v10                             // shift storeRemap coord1
v_cvt_f16_f32 v[vgprValuC+16], v[vgprValuC+16]     // convert C to fp16
v_cvt_f16_f32 v[vgprValuC+17], v[vgprValuC+17]     // convert C to fp16
v_pack_b32_f16 v16, v[vgprValuC+16], v[vgprValuC+17] // Pack with neighbor
v_cvt_f16_f32 v[vgprValuC+18], v[vgprValuC+18]     // convert C to fp16
v_cvt_f16_f32 v[vgprValuC+19], v[vgprValuC+19]     // convert C to fp16
v_pack_b32_f16 v17, v[vgprValuC+18], v[vgprValuC+19] // Pack with neighbor
_ds_store_b64 v7, v[16:17], offset:0               // storeRemap lw

/* Handle local read and global write */
s_waitcnt lgkmcnt(0)                               // wait for LDS write
s_barrier //wait all lds write finished

_ds_load_b64 v[14:15], v8, offset:0                // storeRemap lr

v_mov_b32 v13, v6                                  // coord1
v_mul_lo_u32 v13, v13, s[sgprStrideD1J]            // coord1 offset =  coord1 * StrideD
_v_add_lshl_u32 v13, v13, v4, 0x1                  // global write D address
s_waitcnt lgkmcnt(0)                               // wait for LDS read
_buffer_store_b64 v[14:15], v13, s[sgprSrdD:sgprSrdD+3], 0, offen, offset:0 // store D

s_barrier //wait all lds read finished
s_nop 0                                            // 1 wait state required when next inst writes vgprs held by previous dwordx4 store inst
/* optSingleColVgpr=1 optSharedColVgpr=0 optSGPRUsage=BufferLoad_Mask optSrdIncForRow=1 */

/******************************************/
/* Global Write Alpha Batch #7 (d1,d0,vc1,vc0) = */
/*    (7,0,0,0:vw4)                       */
/******************************************/

/* calc coords, apply mask, and issue loads (if necessary) */
/* (d1,vc1,d0,vc0)=(7,0,0,0) */
v_accvgpr_read_b32 v[vgprValuC+16], acc28 // copy acc to vreg[28]
v_accvgpr_read_b32 v[vgprValuC+17], acc29 // copy acc to vreg[29]
v_accvgpr_read_b32 v[vgprValuC+18], acc30 // copy acc to vreg[30]
v_accvgpr_read_b32 v[vgprValuC+19], acc31 // copy acc to vreg[31]
s_nop 1                                            // 2 wait states required before reading vgpr

/* rC *= alpha batchElements=[(7, 0, 0, 0)] */
v_mul_f32 v[vgprValuC+16], s[sgprAlpha], v[vgprValuC+16] // *= alpha
v_mul_f32 v[vgprValuC+17], s[sgprAlpha], v[vgprValuC+17] // *= alpha
	;; [unrolled: 1-line block ×4, first 2 shown]

/* apply mask, calc new C and issue writes */

/* StoreRemap: shift coord1 address */
s_mul_i32 s54, s[sgprStrideD1J], 32                // scale StrideD *= numRows(16) * bpe
s_add_u32  s[sgprSrdD+0], s[sgprSrdD+0], s54       // incToNextRow: gra SRD += inc(lower)
s_addc_u32  s[sgprSrdD+1], s[sgprSrdD+1], 0        // incToNextRow: gra SRD += inc(upper)
v_mov_b32 v10, 16                                  // set shift rows
_v_add_u32 v5, v5, v10                             // shift storeRemap coord1
v_cvt_f16_f32 v[vgprValuC+16], v[vgprValuC+16]     // convert C to fp16
v_cvt_f16_f32 v[vgprValuC+17], v[vgprValuC+17]     // convert C to fp16
v_pack_b32_f16 v16, v[vgprValuC+16], v[vgprValuC+17] // Pack with neighbor
v_cvt_f16_f32 v[vgprValuC+18], v[vgprValuC+18]     // convert C to fp16
v_cvt_f16_f32 v[vgprValuC+19], v[vgprValuC+19]     // convert C to fp16
v_pack_b32_f16 v17, v[vgprValuC+18], v[vgprValuC+19] // Pack with neighbor
_ds_store_b64 v7, v[16:17], offset:0               // storeRemap lw

/* Handle local read and global write */
s_waitcnt lgkmcnt(0)                               // wait for LDS write
s_barrier //wait all lds write finished

_ds_load_b64 v[14:15], v8, offset:0                // storeRemap lr

v_mov_b32 v13, v6                                  // coord1
v_mul_lo_u32 v13, v13, s[sgprStrideD1J]            // coord1 offset =  coord1 * StrideD
_v_add_lshl_u32 v13, v13, v4, 0x1                  // global write D address
s_waitcnt lgkmcnt(0)                               // wait for LDS read
_buffer_store_b64 v[14:15], v13, s[sgprSrdD:sgprSrdD+3], 0, offen, offset:0 // store D

s_barrier //wait all lds read finished
s_nop 0                                            // 1 wait state required when next inst writes vgprs held by previous dwordx4 store inst
/* optSingleColVgpr=1 optSharedColVgpr=0 optSGPRUsage=BufferLoad_Mask optSrdIncForRow=1 */

/******************************************/
/* Global Write Alpha Batch #8 (d1,d0,vc1,vc0) = */
/*    (8,0,0,0:vw4)                       */
/******************************************/

/* calc coords, apply mask, and issue loads (if necessary) */
/* (d1,vc1,d0,vc0)=(8,0,0,0) */
v_accvgpr_read_b32 v[vgprValuC+16], acc32 // copy acc to vreg[32]
v_accvgpr_read_b32 v[vgprValuC+17], acc33 // copy acc to vreg[33]
v_accvgpr_read_b32 v[vgprValuC+18], acc34 // copy acc to vreg[34]
v_accvgpr_read_b32 v[vgprValuC+19], acc35 // copy acc to vreg[35]
s_nop 1                                            // 2 wait states required before reading vgpr

/* rC *= alpha batchElements=[(8, 0, 0, 0)] */
v_mul_f32 v[vgprValuC+16], s[sgprAlpha], v[vgprValuC+16] // *= alpha
v_mul_f32 v[vgprValuC+17], s[sgprAlpha], v[vgprValuC+17] // *= alpha
	;; [unrolled: 1-line block ×4, first 2 shown]

/* apply mask, calc new C and issue writes */

/* StoreRemap: shift coord1 address */
s_mul_i32 s54, s[sgprStrideD1J], 32                // scale StrideD *= numRows(16) * bpe
s_add_u32  s[sgprSrdD+0], s[sgprSrdD+0], s54       // incToNextRow: gra SRD += inc(lower)
s_addc_u32  s[sgprSrdD+1], s[sgprSrdD+1], 0        // incToNextRow: gra SRD += inc(upper)
v_mov_b32 v10, 16                                  // set shift rows
_v_add_u32 v5, v5, v10                             // shift storeRemap coord1
v_cvt_f16_f32 v[vgprValuC+16], v[vgprValuC+16]     // convert C to fp16
v_cvt_f16_f32 v[vgprValuC+17], v[vgprValuC+17]     // convert C to fp16
v_pack_b32_f16 v16, v[vgprValuC+16], v[vgprValuC+17] // Pack with neighbor
v_cvt_f16_f32 v[vgprValuC+18], v[vgprValuC+18]     // convert C to fp16
v_cvt_f16_f32 v[vgprValuC+19], v[vgprValuC+19]     // convert C to fp16
v_pack_b32_f16 v17, v[vgprValuC+18], v[vgprValuC+19] // Pack with neighbor
_ds_store_b64 v7, v[16:17], offset:0               // storeRemap lw

/* Handle local read and global write */
s_waitcnt lgkmcnt(0)                               // wait for LDS write
s_barrier //wait all lds write finished

_ds_load_b64 v[14:15], v8, offset:0                // storeRemap lr

v_mov_b32 v13, v6                                  // coord1
v_mul_lo_u32 v13, v13, s[sgprStrideD1J]            // coord1 offset =  coord1 * StrideD
_v_add_lshl_u32 v13, v13, v4, 0x1                  // global write D address
s_waitcnt lgkmcnt(0)                               // wait for LDS read
_buffer_store_b64 v[14:15], v13, s[sgprSrdD:sgprSrdD+3], 0, offen, offset:0 // store D

s_barrier //wait all lds read finished
s_nop 0                                            // 1 wait state required when next inst writes vgprs held by previous dwordx4 store inst
s_branch label_GW_End_88                           // jump to end
GW_B0_E1_80:

/* edge=0, allocate 6 sgpr. perBatchTmpS=4 perBatchMaskS=2 perElementMaskS=0 elementsPerBatch=1 */
/* optSingleColVgpr=0 optSharedColVgpr=0 optSGPRUsage=BufferLoad_Edge_Mask optSrdIncForRow=1 */

/******************************************/
/* Global Write Alpha Edge Batch #0 (d1,d0,vc1,vc0) = */
/*    (0,0,0,0:vw4)                       */
/******************************************/

/* calc coords, apply mask, and issue loads (if necessary) */
/* (d1,vc1,d0,vc0)=(0,0,0,0) */
_v_add_lshl_u32 v9, v3, v0, 0x1                    // scaleToBpe: accumulate d0 lower and *= bpe into Cin addr
v_accvgpr_read_b32 v[vgprValuC+12], acc0 // copy acc to vreg[0]
v_accvgpr_read_b32 v[vgprValuC+13], acc1 // copy acc to vreg[1]
v_accvgpr_read_b32 v[vgprValuC+14], acc2 // copy acc to vreg[2]
v_accvgpr_read_b32 v[vgprValuC+15], acc3 // copy acc to vreg[3]
s_nop 1                                            // 2 wait states required before reading vgpr

/* rC *= alpha batchElements=[(0, 0, 0, 0)] */
v_mul_f32 v[vgprValuC+12], s[sgprAlpha], v[vgprValuC+12] // *= alpha
v_mul_f32 v[vgprValuC+13], s[sgprAlpha], v[vgprValuC+13] // *= alpha
	;; [unrolled: 1-line block ×4, first 2 shown]

/* apply mask, calc new C and issue writes */
v_cvt_f16_f32 v[vgprValuC+12], v[vgprValuC+12]     // convert C to fp16
v_cvt_f16_f32 v[vgprValuC+13], v[vgprValuC+13]     // convert C to fp16
v_pack_b32_f16 v12, v[vgprValuC+12], v[vgprValuC+13] // Pack with neighbor
v_cvt_f16_f32 v[vgprValuC+14], v[vgprValuC+14]     // convert C to fp16
v_cvt_f16_f32 v[vgprValuC+15], v[vgprValuC+15]     // convert C to fp16
v_pack_b32_f16 v13, v[vgprValuC+14], v[vgprValuC+15] // Pack with neighbor
_ds_store_b64 v7, v[12:13], offset:0               // storeRemap lw

/* Handle local read and global write */
s_waitcnt lgkmcnt(0)                               // wait for LDS write
s_barrier //wait all lds write finished

_ds_load_b64 v[12:13], v8, offset:0                // storeRemap lr

s_waitcnt lgkmcnt(0)                               // wait for LDS read
_v_add_u32 v11, v5, 0                              // coord1 += nColPerLoad
_v_add_u32 v10, v4, 0                              // coord0 += element index of load vector
_v_add_u32 v9, v6, 0                               // offset coord1 += nColPerLoad
v_cmp_lt_u32 s[54:55], v10, s[sgprSizeI]           // coord0 < size0
v_cmp_lt_u32 s[56:57], v11, s[sgprSizeJ]           // coord1 < size1
s_and_b64 s[56:57], s[54:55], s[56:57]             // in0 && in1
v_mul_lo_u32 v9, v9, s[sgprStrideD1J]              // coord1 element offset =  coord1 * StrideD
_v_add_lshl_u32 v9, v9, v10, 0x1                   // scale to BPE
v_cndmask_b32 v9, -1, v9, s[56:57]                 // clip if OOB. offset
_buffer_store_b16 v12, v9, s[sgprSrdD:sgprSrdD+3], 0, offen, offset:0 // store D
_v_add_u32 v11, v5, 0                              // coord1 += nColPerLoad
_v_add_u32 v10, v4, 1                              // coord0 += element index of load vector
_v_add_u32 v9, v6, 0                               // offset coord1 += nColPerLoad
v_cmp_lt_u32 s[54:55], v10, s[sgprSizeI]           // coord0 < size0
v_cmp_lt_u32 s[56:57], v11, s[sgprSizeJ]           // coord1 < size1
s_and_b64 s[56:57], s[54:55], s[56:57]             // in0 && in1
v_mul_lo_u32 v9, v9, s[sgprStrideD1J]              // coord1 element offset =  coord1 * StrideD
_v_add_lshl_u32 v9, v9, v10, 0x1                   // scale to BPE
v_cndmask_b32 v9, -1, v9, s[56:57]                 // clip if OOB. offset
_buffer_store_d16_hi_b16 v12, v9, s[sgprSrdD:sgprSrdD+3], 0, offen, offset:0 // store D
_v_add_u32 v11, v5, 0                              // coord1 += nColPerLoad
_v_add_u32 v10, v4, 2                              // coord0 += element index of load vector
_v_add_u32 v9, v6, 0                               // offset coord1 += nColPerLoad
v_cmp_lt_u32 s[54:55], v10, s[sgprSizeI]           // coord0 < size0
v_cmp_lt_u32 s[56:57], v11, s[sgprSizeJ]           // coord1 < size1
s_and_b64 s[56:57], s[54:55], s[56:57]             // in0 && in1
v_mul_lo_u32 v9, v9, s[sgprStrideD1J]              // coord1 element offset =  coord1 * StrideD
_v_add_lshl_u32 v9, v9, v10, 0x1                   // scale to BPE
v_cndmask_b32 v9, -1, v9, s[56:57]                 // clip if OOB. offset
_buffer_store_b16 v13, v9, s[sgprSrdD:sgprSrdD+3], 0, offen, offset:0 // store D
_v_add_u32 v11, v5, 0                              // coord1 += nColPerLoad
_v_add_u32 v10, v4, 3                              // coord0 += element index of load vector
_v_add_u32 v9, v6, 0                               // offset coord1 += nColPerLoad
v_cmp_lt_u32 s[54:55], v10, s[sgprSizeI]           // coord0 < size0
v_cmp_lt_u32 s[56:57], v11, s[sgprSizeJ]           // coord1 < size1
s_and_b64 s[56:57], s[54:55], s[56:57]             // in0 && in1
v_mul_lo_u32 v9, v9, s[sgprStrideD1J]              // coord1 element offset =  coord1 * StrideD
_v_add_lshl_u32 v9, v9, v10, 0x1                   // scale to BPE
v_cndmask_b32 v9, -1, v9, s[56:57]                 // clip if OOB. offset
_buffer_store_d16_hi_b16 v13, v9, s[sgprSrdD:sgprSrdD+3], 0, offen, offset:0 // store D

s_barrier //wait all lds read finished
s_nop 0                                            // 1 wait state required when next inst writes vgprs held by previous dwordx4 store inst
/* optSingleColVgpr=0 optSharedColVgpr=0 optSGPRUsage=BufferLoad_Edge_Mask optSrdIncForRow=1 */

/******************************************/
/* Global Write Alpha Edge Batch #1 (d1,d0,vc1,vc0) = */
/*    (1,0,0,0:vw4)                       */
/******************************************/

/* calc coords, apply mask, and issue loads (if necessary) */
/* (d1,vc1,d0,vc0)=(1,0,0,0) */
_v_add_co_u32 v1, vcc, v1, 16                      // coord1.1: coord1Vgpr += d1*sg1*VW + vc1
_v_add_lshl_u32 v9, v3, v0, 0x1                    // scaleToBpe: accumulate d0 lower and *= bpe into Cin addr
v_accvgpr_read_b32 v[vgprValuC+12], acc4 // copy acc to vreg[4]
v_accvgpr_read_b32 v[vgprValuC+13], acc5 // copy acc to vreg[5]
v_accvgpr_read_b32 v[vgprValuC+14], acc6 // copy acc to vreg[6]
v_accvgpr_read_b32 v[vgprValuC+15], acc7 // copy acc to vreg[7]
s_nop 1                                            // 2 wait states required before reading vgpr

/* rC *= alpha batchElements=[(1, 0, 0, 0)] */
v_mul_f32 v[vgprValuC+12], s[sgprAlpha], v[vgprValuC+12] // *= alpha
v_mul_f32 v[vgprValuC+13], s[sgprAlpha], v[vgprValuC+13] // *= alpha
v_mul_f32 v[vgprValuC+14], s[sgprAlpha], v[vgprValuC+14] // *= alpha
v_mul_f32 v[vgprValuC+15], s[sgprAlpha], v[vgprValuC+15] // *= alpha

/* apply mask, calc new C and issue writes */

/* StoreRemap: shift coord1 address */
s_mul_i32 s54, s[sgprStrideD1J], 32                // scale StrideD *= numRows(16) * bpe
s_add_u32  s[sgprSrdD+0], s[sgprSrdD+0], s54       // incToNextRow: gra SRD += inc(lower)
s_addc_u32  s[sgprSrdD+1], s[sgprSrdD+1], 0        // incToNextRow: gra SRD += inc(upper)
v_mov_b32 v10, 16                                  // set shift rows
_v_add_u32 v5, v5, v10                             // shift storeRemap coord1
v_cvt_f16_f32 v[vgprValuC+12], v[vgprValuC+12]     // convert C to fp16
v_cvt_f16_f32 v[vgprValuC+13], v[vgprValuC+13]     // convert C to fp16
v_pack_b32_f16 v12, v[vgprValuC+12], v[vgprValuC+13] // Pack with neighbor
v_cvt_f16_f32 v[vgprValuC+14], v[vgprValuC+14]     // convert C to fp16
v_cvt_f16_f32 v[vgprValuC+15], v[vgprValuC+15]     // convert C to fp16
v_pack_b32_f16 v13, v[vgprValuC+14], v[vgprValuC+15] // Pack with neighbor
_ds_store_b64 v7, v[12:13], offset:0               // storeRemap lw

/* Handle local read and global write */
s_waitcnt lgkmcnt(0)                               // wait for LDS write
s_barrier //wait all lds write finished

_ds_load_b64 v[12:13], v8, offset:0                // storeRemap lr

s_waitcnt lgkmcnt(0)                               // wait for LDS read
_v_add_u32 v11, v5, 0                              // coord1 += nColPerLoad
_v_add_u32 v10, v4, 0                              // coord0 += element index of load vector
_v_add_u32 v9, v6, 0                               // offset coord1 += nColPerLoad
v_cmp_lt_u32 s[54:55], v10, s[sgprSizeI]           // coord0 < size0
v_cmp_lt_u32 s[56:57], v11, s[sgprSizeJ]           // coord1 < size1
s_and_b64 s[56:57], s[54:55], s[56:57]             // in0 && in1
v_mul_lo_u32 v9, v9, s[sgprStrideD1J]              // coord1 element offset =  coord1 * StrideD
_v_add_lshl_u32 v9, v9, v10, 0x1                   // scale to BPE
v_cndmask_b32 v9, -1, v9, s[56:57]                 // clip if OOB. offset
_buffer_store_b16 v12, v9, s[sgprSrdD:sgprSrdD+3], 0, offen, offset:0 // store D
_v_add_u32 v11, v5, 0                              // coord1 += nColPerLoad
_v_add_u32 v10, v4, 1                              // coord0 += element index of load vector
_v_add_u32 v9, v6, 0                               // offset coord1 += nColPerLoad
v_cmp_lt_u32 s[54:55], v10, s[sgprSizeI]           // coord0 < size0
v_cmp_lt_u32 s[56:57], v11, s[sgprSizeJ]           // coord1 < size1
s_and_b64 s[56:57], s[54:55], s[56:57]             // in0 && in1
v_mul_lo_u32 v9, v9, s[sgprStrideD1J]              // coord1 element offset =  coord1 * StrideD
_v_add_lshl_u32 v9, v9, v10, 0x1                   // scale to BPE
v_cndmask_b32 v9, -1, v9, s[56:57]                 // clip if OOB. offset
_buffer_store_d16_hi_b16 v12, v9, s[sgprSrdD:sgprSrdD+3], 0, offen, offset:0 // store D
_v_add_u32 v11, v5, 0                              // coord1 += nColPerLoad
_v_add_u32 v10, v4, 2                              // coord0 += element index of load vector
_v_add_u32 v9, v6, 0                               // offset coord1 += nColPerLoad
v_cmp_lt_u32 s[54:55], v10, s[sgprSizeI]           // coord0 < size0
v_cmp_lt_u32 s[56:57], v11, s[sgprSizeJ]           // coord1 < size1
s_and_b64 s[56:57], s[54:55], s[56:57]             // in0 && in1
v_mul_lo_u32 v9, v9, s[sgprStrideD1J]              // coord1 element offset =  coord1 * StrideD
_v_add_lshl_u32 v9, v9, v10, 0x1                   // scale to BPE
v_cndmask_b32 v9, -1, v9, s[56:57]                 // clip if OOB. offset
_buffer_store_b16 v13, v9, s[sgprSrdD:sgprSrdD+3], 0, offen, offset:0 // store D
_v_add_u32 v11, v5, 0                              // coord1 += nColPerLoad
_v_add_u32 v10, v4, 3                              // coord0 += element index of load vector
_v_add_u32 v9, v6, 0                               // offset coord1 += nColPerLoad
v_cmp_lt_u32 s[54:55], v10, s[sgprSizeI]           // coord0 < size0
v_cmp_lt_u32 s[56:57], v11, s[sgprSizeJ]           // coord1 < size1
s_and_b64 s[56:57], s[54:55], s[56:57]             // in0 && in1
v_mul_lo_u32 v9, v9, s[sgprStrideD1J]              // coord1 element offset =  coord1 * StrideD
_v_add_lshl_u32 v9, v9, v10, 0x1                   // scale to BPE
v_cndmask_b32 v9, -1, v9, s[56:57]                 // clip if OOB. offset
_buffer_store_d16_hi_b16 v13, v9, s[sgprSrdD:sgprSrdD+3], 0, offen, offset:0 // store D

s_barrier //wait all lds read finished
s_nop 0                                            // 1 wait state required when next inst writes vgprs held by previous dwordx4 store inst
/* optSingleColVgpr=0 optSharedColVgpr=0 optSGPRUsage=BufferLoad_Edge_Mask optSrdIncForRow=1 */

/******************************************/
/* Global Write Alpha Edge Batch #2 (d1,d0,vc1,vc0) = */
/*    (2,0,0,0:vw4)                       */
/******************************************/

/* calc coords, apply mask, and issue loads (if necessary) */
/* (d1,vc1,d0,vc0)=(2,0,0,0) */
_v_add_co_u32 v1, vcc, v1, 16                      // coord1.1: coord1Vgpr += d1*sg1*VW + vc1
_v_add_lshl_u32 v9, v3, v0, 0x1                    // scaleToBpe: accumulate d0 lower and *= bpe into Cin addr
v_accvgpr_read_b32 v[vgprValuC+12], acc8 // copy acc to vreg[8]
v_accvgpr_read_b32 v[vgprValuC+13], acc9 // copy acc to vreg[9]
v_accvgpr_read_b32 v[vgprValuC+14], acc10 // copy acc to vreg[10]
v_accvgpr_read_b32 v[vgprValuC+15], acc11 // copy acc to vreg[11]
s_nop 1                                            // 2 wait states required before reading vgpr

/* rC *= alpha batchElements=[(2, 0, 0, 0)] */
v_mul_f32 v[vgprValuC+12], s[sgprAlpha], v[vgprValuC+12] // *= alpha
v_mul_f32 v[vgprValuC+13], s[sgprAlpha], v[vgprValuC+13] // *= alpha
	;; [unrolled: 1-line block ×4, first 2 shown]

/* apply mask, calc new C and issue writes */

/* StoreRemap: shift coord1 address */
s_mul_i32 s54, s[sgprStrideD1J], 32                // scale StrideD *= numRows(16) * bpe
s_add_u32  s[sgprSrdD+0], s[sgprSrdD+0], s54       // incToNextRow: gra SRD += inc(lower)
s_addc_u32  s[sgprSrdD+1], s[sgprSrdD+1], 0        // incToNextRow: gra SRD += inc(upper)
v_mov_b32 v10, 16                                  // set shift rows
_v_add_u32 v5, v5, v10                             // shift storeRemap coord1
v_cvt_f16_f32 v[vgprValuC+12], v[vgprValuC+12]     // convert C to fp16
v_cvt_f16_f32 v[vgprValuC+13], v[vgprValuC+13]     // convert C to fp16
v_pack_b32_f16 v12, v[vgprValuC+12], v[vgprValuC+13] // Pack with neighbor
v_cvt_f16_f32 v[vgprValuC+14], v[vgprValuC+14]     // convert C to fp16
v_cvt_f16_f32 v[vgprValuC+15], v[vgprValuC+15]     // convert C to fp16
v_pack_b32_f16 v13, v[vgprValuC+14], v[vgprValuC+15] // Pack with neighbor
_ds_store_b64 v7, v[12:13], offset:0               // storeRemap lw

/* Handle local read and global write */
s_waitcnt lgkmcnt(0)                               // wait for LDS write
s_barrier //wait all lds write finished

_ds_load_b64 v[12:13], v8, offset:0                // storeRemap lr

s_waitcnt lgkmcnt(0)                               // wait for LDS read
_v_add_u32 v11, v5, 0                              // coord1 += nColPerLoad
_v_add_u32 v10, v4, 0                              // coord0 += element index of load vector
_v_add_u32 v9, v6, 0                               // offset coord1 += nColPerLoad
v_cmp_lt_u32 s[54:55], v10, s[sgprSizeI]           // coord0 < size0
v_cmp_lt_u32 s[56:57], v11, s[sgprSizeJ]           // coord1 < size1
s_and_b64 s[56:57], s[54:55], s[56:57]             // in0 && in1
v_mul_lo_u32 v9, v9, s[sgprStrideD1J]              // coord1 element offset =  coord1 * StrideD
_v_add_lshl_u32 v9, v9, v10, 0x1                   // scale to BPE
v_cndmask_b32 v9, -1, v9, s[56:57]                 // clip if OOB. offset
_buffer_store_b16 v12, v9, s[sgprSrdD:sgprSrdD+3], 0, offen, offset:0 // store D
_v_add_u32 v11, v5, 0                              // coord1 += nColPerLoad
_v_add_u32 v10, v4, 1                              // coord0 += element index of load vector
_v_add_u32 v9, v6, 0                               // offset coord1 += nColPerLoad
v_cmp_lt_u32 s[54:55], v10, s[sgprSizeI]           // coord0 < size0
v_cmp_lt_u32 s[56:57], v11, s[sgprSizeJ]           // coord1 < size1
s_and_b64 s[56:57], s[54:55], s[56:57]             // in0 && in1
v_mul_lo_u32 v9, v9, s[sgprStrideD1J]              // coord1 element offset =  coord1 * StrideD
_v_add_lshl_u32 v9, v9, v10, 0x1                   // scale to BPE
v_cndmask_b32 v9, -1, v9, s[56:57]                 // clip if OOB. offset
_buffer_store_d16_hi_b16 v12, v9, s[sgprSrdD:sgprSrdD+3], 0, offen, offset:0 // store D
_v_add_u32 v11, v5, 0                              // coord1 += nColPerLoad
_v_add_u32 v10, v4, 2                              // coord0 += element index of load vector
_v_add_u32 v9, v6, 0                               // offset coord1 += nColPerLoad
v_cmp_lt_u32 s[54:55], v10, s[sgprSizeI]           // coord0 < size0
v_cmp_lt_u32 s[56:57], v11, s[sgprSizeJ]           // coord1 < size1
s_and_b64 s[56:57], s[54:55], s[56:57]             // in0 && in1
v_mul_lo_u32 v9, v9, s[sgprStrideD1J]              // coord1 element offset =  coord1 * StrideD
_v_add_lshl_u32 v9, v9, v10, 0x1                   // scale to BPE
v_cndmask_b32 v9, -1, v9, s[56:57]                 // clip if OOB. offset
_buffer_store_b16 v13, v9, s[sgprSrdD:sgprSrdD+3], 0, offen, offset:0 // store D
_v_add_u32 v11, v5, 0                              // coord1 += nColPerLoad
_v_add_u32 v10, v4, 3                              // coord0 += element index of load vector
_v_add_u32 v9, v6, 0                               // offset coord1 += nColPerLoad
v_cmp_lt_u32 s[54:55], v10, s[sgprSizeI]           // coord0 < size0
v_cmp_lt_u32 s[56:57], v11, s[sgprSizeJ]           // coord1 < size1
s_and_b64 s[56:57], s[54:55], s[56:57]             // in0 && in1
v_mul_lo_u32 v9, v9, s[sgprStrideD1J]              // coord1 element offset =  coord1 * StrideD
_v_add_lshl_u32 v9, v9, v10, 0x1                   // scale to BPE
v_cndmask_b32 v9, -1, v9, s[56:57]                 // clip if OOB. offset
_buffer_store_d16_hi_b16 v13, v9, s[sgprSrdD:sgprSrdD+3], 0, offen, offset:0 // store D

s_barrier //wait all lds read finished
s_nop 0                                            // 1 wait state required when next inst writes vgprs held by previous dwordx4 store inst
/* optSingleColVgpr=0 optSharedColVgpr=0 optSGPRUsage=BufferLoad_Edge_Mask optSrdIncForRow=1 */

/******************************************/
/* Global Write Alpha Edge Batch #3 (d1,d0,vc1,vc0) = */
/*    (3,0,0,0:vw4)                       */
/******************************************/

/* calc coords, apply mask, and issue loads (if necessary) */
/* (d1,vc1,d0,vc0)=(3,0,0,0) */
_v_add_co_u32 v1, vcc, v1, 16                      // coord1.1: coord1Vgpr += d1*sg1*VW + vc1
_v_add_lshl_u32 v9, v3, v0, 0x1                    // scaleToBpe: accumulate d0 lower and *= bpe into Cin addr
v_accvgpr_read_b32 v[vgprValuC+12], acc12 // copy acc to vreg[12]
v_accvgpr_read_b32 v[vgprValuC+13], acc13 // copy acc to vreg[13]
v_accvgpr_read_b32 v[vgprValuC+14], acc14 // copy acc to vreg[14]
v_accvgpr_read_b32 v[vgprValuC+15], acc15 // copy acc to vreg[15]
s_nop 1                                            // 2 wait states required before reading vgpr

/* rC *= alpha batchElements=[(3, 0, 0, 0)] */
v_mul_f32 v[vgprValuC+12], s[sgprAlpha], v[vgprValuC+12] // *= alpha
v_mul_f32 v[vgprValuC+13], s[sgprAlpha], v[vgprValuC+13] // *= alpha
	;; [unrolled: 1-line block ×4, first 2 shown]

/* apply mask, calc new C and issue writes */

/* StoreRemap: shift coord1 address */
s_mul_i32 s54, s[sgprStrideD1J], 32                // scale StrideD *= numRows(16) * bpe
s_add_u32  s[sgprSrdD+0], s[sgprSrdD+0], s54       // incToNextRow: gra SRD += inc(lower)
s_addc_u32  s[sgprSrdD+1], s[sgprSrdD+1], 0        // incToNextRow: gra SRD += inc(upper)
v_mov_b32 v10, 16                                  // set shift rows
_v_add_u32 v5, v5, v10                             // shift storeRemap coord1
v_cvt_f16_f32 v[vgprValuC+12], v[vgprValuC+12]     // convert C to fp16
v_cvt_f16_f32 v[vgprValuC+13], v[vgprValuC+13]     // convert C to fp16
v_pack_b32_f16 v12, v[vgprValuC+12], v[vgprValuC+13] // Pack with neighbor
v_cvt_f16_f32 v[vgprValuC+14], v[vgprValuC+14]     // convert C to fp16
v_cvt_f16_f32 v[vgprValuC+15], v[vgprValuC+15]     // convert C to fp16
v_pack_b32_f16 v13, v[vgprValuC+14], v[vgprValuC+15] // Pack with neighbor
_ds_store_b64 v7, v[12:13], offset:0               // storeRemap lw

/* Handle local read and global write */
s_waitcnt lgkmcnt(0)                               // wait for LDS write
s_barrier //wait all lds write finished

_ds_load_b64 v[12:13], v8, offset:0                // storeRemap lr

s_waitcnt lgkmcnt(0)                               // wait for LDS read
_v_add_u32 v11, v5, 0                              // coord1 += nColPerLoad
_v_add_u32 v10, v4, 0                              // coord0 += element index of load vector
_v_add_u32 v9, v6, 0                               // offset coord1 += nColPerLoad
v_cmp_lt_u32 s[54:55], v10, s[sgprSizeI]           // coord0 < size0
v_cmp_lt_u32 s[56:57], v11, s[sgprSizeJ]           // coord1 < size1
s_and_b64 s[56:57], s[54:55], s[56:57]             // in0 && in1
v_mul_lo_u32 v9, v9, s[sgprStrideD1J]              // coord1 element offset =  coord1 * StrideD
_v_add_lshl_u32 v9, v9, v10, 0x1                   // scale to BPE
v_cndmask_b32 v9, -1, v9, s[56:57]                 // clip if OOB. offset
_buffer_store_b16 v12, v9, s[sgprSrdD:sgprSrdD+3], 0, offen, offset:0 // store D
_v_add_u32 v11, v5, 0                              // coord1 += nColPerLoad
_v_add_u32 v10, v4, 1                              // coord0 += element index of load vector
_v_add_u32 v9, v6, 0                               // offset coord1 += nColPerLoad
v_cmp_lt_u32 s[54:55], v10, s[sgprSizeI]           // coord0 < size0
v_cmp_lt_u32 s[56:57], v11, s[sgprSizeJ]           // coord1 < size1
s_and_b64 s[56:57], s[54:55], s[56:57]             // in0 && in1
v_mul_lo_u32 v9, v9, s[sgprStrideD1J]              // coord1 element offset =  coord1 * StrideD
_v_add_lshl_u32 v9, v9, v10, 0x1                   // scale to BPE
v_cndmask_b32 v9, -1, v9, s[56:57]                 // clip if OOB. offset
_buffer_store_d16_hi_b16 v12, v9, s[sgprSrdD:sgprSrdD+3], 0, offen, offset:0 // store D
_v_add_u32 v11, v5, 0                              // coord1 += nColPerLoad
_v_add_u32 v10, v4, 2                              // coord0 += element index of load vector
_v_add_u32 v9, v6, 0                               // offset coord1 += nColPerLoad
v_cmp_lt_u32 s[54:55], v10, s[sgprSizeI]           // coord0 < size0
v_cmp_lt_u32 s[56:57], v11, s[sgprSizeJ]           // coord1 < size1
s_and_b64 s[56:57], s[54:55], s[56:57]             // in0 && in1
v_mul_lo_u32 v9, v9, s[sgprStrideD1J]              // coord1 element offset =  coord1 * StrideD
_v_add_lshl_u32 v9, v9, v10, 0x1                   // scale to BPE
v_cndmask_b32 v9, -1, v9, s[56:57]                 // clip if OOB. offset
_buffer_store_b16 v13, v9, s[sgprSrdD:sgprSrdD+3], 0, offen, offset:0 // store D
_v_add_u32 v11, v5, 0                              // coord1 += nColPerLoad
_v_add_u32 v10, v4, 3                              // coord0 += element index of load vector
_v_add_u32 v9, v6, 0                               // offset coord1 += nColPerLoad
v_cmp_lt_u32 s[54:55], v10, s[sgprSizeI]           // coord0 < size0
v_cmp_lt_u32 s[56:57], v11, s[sgprSizeJ]           // coord1 < size1
s_and_b64 s[56:57], s[54:55], s[56:57]             // in0 && in1
v_mul_lo_u32 v9, v9, s[sgprStrideD1J]              // coord1 element offset =  coord1 * StrideD
_v_add_lshl_u32 v9, v9, v10, 0x1                   // scale to BPE
v_cndmask_b32 v9, -1, v9, s[56:57]                 // clip if OOB. offset
_buffer_store_d16_hi_b16 v13, v9, s[sgprSrdD:sgprSrdD+3], 0, offen, offset:0 // store D

s_barrier //wait all lds read finished
s_nop 0                                            // 1 wait state required when next inst writes vgprs held by previous dwordx4 store inst
/* optSingleColVgpr=0 optSharedColVgpr=0 optSGPRUsage=BufferLoad_Edge_Mask optSrdIncForRow=1 */

/******************************************/
/* Global Write Alpha Edge Batch #4 (d1,d0,vc1,vc0) = */
/*    (4,0,0,0:vw4)                       */
/******************************************/

/* calc coords, apply mask, and issue loads (if necessary) */
/* (d1,vc1,d0,vc0)=(4,0,0,0) */
_v_add_co_u32 v1, vcc, v1, 16                      // coord1.1: coord1Vgpr += d1*sg1*VW + vc1
_v_add_lshl_u32 v9, v3, v0, 0x1                    // scaleToBpe: accumulate d0 lower and *= bpe into Cin addr
v_accvgpr_read_b32 v[vgprValuC+12], acc16 // copy acc to vreg[16]
v_accvgpr_read_b32 v[vgprValuC+13], acc17 // copy acc to vreg[17]
v_accvgpr_read_b32 v[vgprValuC+14], acc18 // copy acc to vreg[18]
v_accvgpr_read_b32 v[vgprValuC+15], acc19 // copy acc to vreg[19]
s_nop 1                                            // 2 wait states required before reading vgpr

/* rC *= alpha batchElements=[(4, 0, 0, 0)] */
v_mul_f32 v[vgprValuC+12], s[sgprAlpha], v[vgprValuC+12] // *= alpha
v_mul_f32 v[vgprValuC+13], s[sgprAlpha], v[vgprValuC+13] // *= alpha
	;; [unrolled: 1-line block ×4, first 2 shown]

/* apply mask, calc new C and issue writes */

/* StoreRemap: shift coord1 address */
s_mul_i32 s54, s[sgprStrideD1J], 32                // scale StrideD *= numRows(16) * bpe
s_add_u32  s[sgprSrdD+0], s[sgprSrdD+0], s54       // incToNextRow: gra SRD += inc(lower)
s_addc_u32  s[sgprSrdD+1], s[sgprSrdD+1], 0        // incToNextRow: gra SRD += inc(upper)
v_mov_b32 v10, 16                                  // set shift rows
_v_add_u32 v5, v5, v10                             // shift storeRemap coord1
v_cvt_f16_f32 v[vgprValuC+12], v[vgprValuC+12]     // convert C to fp16
v_cvt_f16_f32 v[vgprValuC+13], v[vgprValuC+13]     // convert C to fp16
v_pack_b32_f16 v12, v[vgprValuC+12], v[vgprValuC+13] // Pack with neighbor
v_cvt_f16_f32 v[vgprValuC+14], v[vgprValuC+14]     // convert C to fp16
v_cvt_f16_f32 v[vgprValuC+15], v[vgprValuC+15]     // convert C to fp16
v_pack_b32_f16 v13, v[vgprValuC+14], v[vgprValuC+15] // Pack with neighbor
_ds_store_b64 v7, v[12:13], offset:0               // storeRemap lw

/* Handle local read and global write */
s_waitcnt lgkmcnt(0)                               // wait for LDS write
s_barrier //wait all lds write finished

_ds_load_b64 v[12:13], v8, offset:0                // storeRemap lr

s_waitcnt lgkmcnt(0)                               // wait for LDS read
_v_add_u32 v11, v5, 0                              // coord1 += nColPerLoad
_v_add_u32 v10, v4, 0                              // coord0 += element index of load vector
_v_add_u32 v9, v6, 0                               // offset coord1 += nColPerLoad
v_cmp_lt_u32 s[54:55], v10, s[sgprSizeI]           // coord0 < size0
v_cmp_lt_u32 s[56:57], v11, s[sgprSizeJ]           // coord1 < size1
s_and_b64 s[56:57], s[54:55], s[56:57]             // in0 && in1
v_mul_lo_u32 v9, v9, s[sgprStrideD1J]              // coord1 element offset =  coord1 * StrideD
_v_add_lshl_u32 v9, v9, v10, 0x1                   // scale to BPE
v_cndmask_b32 v9, -1, v9, s[56:57]                 // clip if OOB. offset
_buffer_store_b16 v12, v9, s[sgprSrdD:sgprSrdD+3], 0, offen, offset:0 // store D
_v_add_u32 v11, v5, 0                              // coord1 += nColPerLoad
_v_add_u32 v10, v4, 1                              // coord0 += element index of load vector
_v_add_u32 v9, v6, 0                               // offset coord1 += nColPerLoad
v_cmp_lt_u32 s[54:55], v10, s[sgprSizeI]           // coord0 < size0
v_cmp_lt_u32 s[56:57], v11, s[sgprSizeJ]           // coord1 < size1
s_and_b64 s[56:57], s[54:55], s[56:57]             // in0 && in1
v_mul_lo_u32 v9, v9, s[sgprStrideD1J]              // coord1 element offset =  coord1 * StrideD
_v_add_lshl_u32 v9, v9, v10, 0x1                   // scale to BPE
v_cndmask_b32 v9, -1, v9, s[56:57]                 // clip if OOB. offset
_buffer_store_d16_hi_b16 v12, v9, s[sgprSrdD:sgprSrdD+3], 0, offen, offset:0 // store D
_v_add_u32 v11, v5, 0                              // coord1 += nColPerLoad
_v_add_u32 v10, v4, 2                              // coord0 += element index of load vector
_v_add_u32 v9, v6, 0                               // offset coord1 += nColPerLoad
v_cmp_lt_u32 s[54:55], v10, s[sgprSizeI]           // coord0 < size0
v_cmp_lt_u32 s[56:57], v11, s[sgprSizeJ]           // coord1 < size1
s_and_b64 s[56:57], s[54:55], s[56:57]             // in0 && in1
v_mul_lo_u32 v9, v9, s[sgprStrideD1J]              // coord1 element offset =  coord1 * StrideD
_v_add_lshl_u32 v9, v9, v10, 0x1                   // scale to BPE
v_cndmask_b32 v9, -1, v9, s[56:57]                 // clip if OOB. offset
_buffer_store_b16 v13, v9, s[sgprSrdD:sgprSrdD+3], 0, offen, offset:0 // store D
_v_add_u32 v11, v5, 0                              // coord1 += nColPerLoad
_v_add_u32 v10, v4, 3                              // coord0 += element index of load vector
_v_add_u32 v9, v6, 0                               // offset coord1 += nColPerLoad
v_cmp_lt_u32 s[54:55], v10, s[sgprSizeI]           // coord0 < size0
v_cmp_lt_u32 s[56:57], v11, s[sgprSizeJ]           // coord1 < size1
s_and_b64 s[56:57], s[54:55], s[56:57]             // in0 && in1
v_mul_lo_u32 v9, v9, s[sgprStrideD1J]              // coord1 element offset =  coord1 * StrideD
_v_add_lshl_u32 v9, v9, v10, 0x1                   // scale to BPE
v_cndmask_b32 v9, -1, v9, s[56:57]                 // clip if OOB. offset
_buffer_store_d16_hi_b16 v13, v9, s[sgprSrdD:sgprSrdD+3], 0, offen, offset:0 // store D

s_barrier //wait all lds read finished
s_nop 0                                            // 1 wait state required when next inst writes vgprs held by previous dwordx4 store inst
/* optSingleColVgpr=0 optSharedColVgpr=0 optSGPRUsage=BufferLoad_Edge_Mask optSrdIncForRow=1 */

/******************************************/
/* Global Write Alpha Edge Batch #5 (d1,d0,vc1,vc0) = */
/*    (5,0,0,0:vw4)                       */
/******************************************/

/* calc coords, apply mask, and issue loads (if necessary) */
/* (d1,vc1,d0,vc0)=(5,0,0,0) */
_v_add_co_u32 v1, vcc, v1, 16                      // coord1.1: coord1Vgpr += d1*sg1*VW + vc1
_v_add_lshl_u32 v9, v3, v0, 0x1                    // scaleToBpe: accumulate d0 lower and *= bpe into Cin addr
v_accvgpr_read_b32 v[vgprValuC+12], acc20 // copy acc to vreg[20]
v_accvgpr_read_b32 v[vgprValuC+13], acc21 // copy acc to vreg[21]
v_accvgpr_read_b32 v[vgprValuC+14], acc22 // copy acc to vreg[22]
v_accvgpr_read_b32 v[vgprValuC+15], acc23 // copy acc to vreg[23]
s_nop 1                                            // 2 wait states required before reading vgpr

/* rC *= alpha batchElements=[(5, 0, 0, 0)] */
v_mul_f32 v[vgprValuC+12], s[sgprAlpha], v[vgprValuC+12] // *= alpha
v_mul_f32 v[vgprValuC+13], s[sgprAlpha], v[vgprValuC+13] // *= alpha
	;; [unrolled: 1-line block ×4, first 2 shown]

/* apply mask, calc new C and issue writes */

/* StoreRemap: shift coord1 address */
s_mul_i32 s54, s[sgprStrideD1J], 32                // scale StrideD *= numRows(16) * bpe
s_add_u32  s[sgprSrdD+0], s[sgprSrdD+0], s54       // incToNextRow: gra SRD += inc(lower)
s_addc_u32  s[sgprSrdD+1], s[sgprSrdD+1], 0        // incToNextRow: gra SRD += inc(upper)
v_mov_b32 v10, 16                                  // set shift rows
_v_add_u32 v5, v5, v10                             // shift storeRemap coord1
v_cvt_f16_f32 v[vgprValuC+12], v[vgprValuC+12]     // convert C to fp16
v_cvt_f16_f32 v[vgprValuC+13], v[vgprValuC+13]     // convert C to fp16
v_pack_b32_f16 v12, v[vgprValuC+12], v[vgprValuC+13] // Pack with neighbor
v_cvt_f16_f32 v[vgprValuC+14], v[vgprValuC+14]     // convert C to fp16
v_cvt_f16_f32 v[vgprValuC+15], v[vgprValuC+15]     // convert C to fp16
v_pack_b32_f16 v13, v[vgprValuC+14], v[vgprValuC+15] // Pack with neighbor
_ds_store_b64 v7, v[12:13], offset:0               // storeRemap lw

/* Handle local read and global write */
s_waitcnt lgkmcnt(0)                               // wait for LDS write
s_barrier //wait all lds write finished

_ds_load_b64 v[12:13], v8, offset:0                // storeRemap lr

s_waitcnt lgkmcnt(0)                               // wait for LDS read
_v_add_u32 v11, v5, 0                              // coord1 += nColPerLoad
_v_add_u32 v10, v4, 0                              // coord0 += element index of load vector
_v_add_u32 v9, v6, 0                               // offset coord1 += nColPerLoad
v_cmp_lt_u32 s[54:55], v10, s[sgprSizeI]           // coord0 < size0
v_cmp_lt_u32 s[56:57], v11, s[sgprSizeJ]           // coord1 < size1
s_and_b64 s[56:57], s[54:55], s[56:57]             // in0 && in1
v_mul_lo_u32 v9, v9, s[sgprStrideD1J]              // coord1 element offset =  coord1 * StrideD
_v_add_lshl_u32 v9, v9, v10, 0x1                   // scale to BPE
v_cndmask_b32 v9, -1, v9, s[56:57]                 // clip if OOB. offset
_buffer_store_b16 v12, v9, s[sgprSrdD:sgprSrdD+3], 0, offen, offset:0 // store D
_v_add_u32 v11, v5, 0                              // coord1 += nColPerLoad
_v_add_u32 v10, v4, 1                              // coord0 += element index of load vector
_v_add_u32 v9, v6, 0                               // offset coord1 += nColPerLoad
v_cmp_lt_u32 s[54:55], v10, s[sgprSizeI]           // coord0 < size0
v_cmp_lt_u32 s[56:57], v11, s[sgprSizeJ]           // coord1 < size1
s_and_b64 s[56:57], s[54:55], s[56:57]             // in0 && in1
v_mul_lo_u32 v9, v9, s[sgprStrideD1J]              // coord1 element offset =  coord1 * StrideD
_v_add_lshl_u32 v9, v9, v10, 0x1                   // scale to BPE
v_cndmask_b32 v9, -1, v9, s[56:57]                 // clip if OOB. offset
_buffer_store_d16_hi_b16 v12, v9, s[sgprSrdD:sgprSrdD+3], 0, offen, offset:0 // store D
_v_add_u32 v11, v5, 0                              // coord1 += nColPerLoad
_v_add_u32 v10, v4, 2                              // coord0 += element index of load vector
_v_add_u32 v9, v6, 0                               // offset coord1 += nColPerLoad
v_cmp_lt_u32 s[54:55], v10, s[sgprSizeI]           // coord0 < size0
v_cmp_lt_u32 s[56:57], v11, s[sgprSizeJ]           // coord1 < size1
s_and_b64 s[56:57], s[54:55], s[56:57]             // in0 && in1
v_mul_lo_u32 v9, v9, s[sgprStrideD1J]              // coord1 element offset =  coord1 * StrideD
_v_add_lshl_u32 v9, v9, v10, 0x1                   // scale to BPE
v_cndmask_b32 v9, -1, v9, s[56:57]                 // clip if OOB. offset
_buffer_store_b16 v13, v9, s[sgprSrdD:sgprSrdD+3], 0, offen, offset:0 // store D
_v_add_u32 v11, v5, 0                              // coord1 += nColPerLoad
_v_add_u32 v10, v4, 3                              // coord0 += element index of load vector
_v_add_u32 v9, v6, 0                               // offset coord1 += nColPerLoad
v_cmp_lt_u32 s[54:55], v10, s[sgprSizeI]           // coord0 < size0
v_cmp_lt_u32 s[56:57], v11, s[sgprSizeJ]           // coord1 < size1
s_and_b64 s[56:57], s[54:55], s[56:57]             // in0 && in1
v_mul_lo_u32 v9, v9, s[sgprStrideD1J]              // coord1 element offset =  coord1 * StrideD
_v_add_lshl_u32 v9, v9, v10, 0x1                   // scale to BPE
v_cndmask_b32 v9, -1, v9, s[56:57]                 // clip if OOB. offset
_buffer_store_d16_hi_b16 v13, v9, s[sgprSrdD:sgprSrdD+3], 0, offen, offset:0 // store D

s_barrier //wait all lds read finished
s_nop 0                                            // 1 wait state required when next inst writes vgprs held by previous dwordx4 store inst
/* optSingleColVgpr=0 optSharedColVgpr=0 optSGPRUsage=BufferLoad_Edge_Mask optSrdIncForRow=1 */

/******************************************/
/* Global Write Alpha Edge Batch #6 (d1,d0,vc1,vc0) = */
/*    (6,0,0,0:vw4)                       */
/******************************************/

/* calc coords, apply mask, and issue loads (if necessary) */
/* (d1,vc1,d0,vc0)=(6,0,0,0) */
_v_add_co_u32 v1, vcc, v1, 16                      // coord1.1: coord1Vgpr += d1*sg1*VW + vc1
_v_add_lshl_u32 v9, v3, v0, 0x1                    // scaleToBpe: accumulate d0 lower and *= bpe into Cin addr
v_accvgpr_read_b32 v[vgprValuC+12], acc24 // copy acc to vreg[24]
v_accvgpr_read_b32 v[vgprValuC+13], acc25 // copy acc to vreg[25]
v_accvgpr_read_b32 v[vgprValuC+14], acc26 // copy acc to vreg[26]
v_accvgpr_read_b32 v[vgprValuC+15], acc27 // copy acc to vreg[27]
s_nop 1                                            // 2 wait states required before reading vgpr

/* rC *= alpha batchElements=[(6, 0, 0, 0)] */
v_mul_f32 v[vgprValuC+12], s[sgprAlpha], v[vgprValuC+12] // *= alpha
v_mul_f32 v[vgprValuC+13], s[sgprAlpha], v[vgprValuC+13] // *= alpha
	;; [unrolled: 1-line block ×4, first 2 shown]

/* apply mask, calc new C and issue writes */

/* StoreRemap: shift coord1 address */
s_mul_i32 s54, s[sgprStrideD1J], 32                // scale StrideD *= numRows(16) * bpe
s_add_u32  s[sgprSrdD+0], s[sgprSrdD+0], s54       // incToNextRow: gra SRD += inc(lower)
s_addc_u32  s[sgprSrdD+1], s[sgprSrdD+1], 0        // incToNextRow: gra SRD += inc(upper)
v_mov_b32 v10, 16                                  // set shift rows
_v_add_u32 v5, v5, v10                             // shift storeRemap coord1
v_cvt_f16_f32 v[vgprValuC+12], v[vgprValuC+12]     // convert C to fp16
v_cvt_f16_f32 v[vgprValuC+13], v[vgprValuC+13]     // convert C to fp16
v_pack_b32_f16 v12, v[vgprValuC+12], v[vgprValuC+13] // Pack with neighbor
v_cvt_f16_f32 v[vgprValuC+14], v[vgprValuC+14]     // convert C to fp16
v_cvt_f16_f32 v[vgprValuC+15], v[vgprValuC+15]     // convert C to fp16
v_pack_b32_f16 v13, v[vgprValuC+14], v[vgprValuC+15] // Pack with neighbor
_ds_store_b64 v7, v[12:13], offset:0               // storeRemap lw

/* Handle local read and global write */
s_waitcnt lgkmcnt(0)                               // wait for LDS write
s_barrier //wait all lds write finished

_ds_load_b64 v[12:13], v8, offset:0                // storeRemap lr

s_waitcnt lgkmcnt(0)                               // wait for LDS read
_v_add_u32 v11, v5, 0                              // coord1 += nColPerLoad
_v_add_u32 v10, v4, 0                              // coord0 += element index of load vector
_v_add_u32 v9, v6, 0                               // offset coord1 += nColPerLoad
v_cmp_lt_u32 s[54:55], v10, s[sgprSizeI]           // coord0 < size0
v_cmp_lt_u32 s[56:57], v11, s[sgprSizeJ]           // coord1 < size1
s_and_b64 s[56:57], s[54:55], s[56:57]             // in0 && in1
v_mul_lo_u32 v9, v9, s[sgprStrideD1J]              // coord1 element offset =  coord1 * StrideD
_v_add_lshl_u32 v9, v9, v10, 0x1                   // scale to BPE
v_cndmask_b32 v9, -1, v9, s[56:57]                 // clip if OOB. offset
_buffer_store_b16 v12, v9, s[sgprSrdD:sgprSrdD+3], 0, offen, offset:0 // store D
_v_add_u32 v11, v5, 0                              // coord1 += nColPerLoad
_v_add_u32 v10, v4, 1                              // coord0 += element index of load vector
_v_add_u32 v9, v6, 0                               // offset coord1 += nColPerLoad
v_cmp_lt_u32 s[54:55], v10, s[sgprSizeI]           // coord0 < size0
v_cmp_lt_u32 s[56:57], v11, s[sgprSizeJ]           // coord1 < size1
s_and_b64 s[56:57], s[54:55], s[56:57]             // in0 && in1
v_mul_lo_u32 v9, v9, s[sgprStrideD1J]              // coord1 element offset =  coord1 * StrideD
_v_add_lshl_u32 v9, v9, v10, 0x1                   // scale to BPE
v_cndmask_b32 v9, -1, v9, s[56:57]                 // clip if OOB. offset
_buffer_store_d16_hi_b16 v12, v9, s[sgprSrdD:sgprSrdD+3], 0, offen, offset:0 // store D
_v_add_u32 v11, v5, 0                              // coord1 += nColPerLoad
_v_add_u32 v10, v4, 2                              // coord0 += element index of load vector
_v_add_u32 v9, v6, 0                               // offset coord1 += nColPerLoad
v_cmp_lt_u32 s[54:55], v10, s[sgprSizeI]           // coord0 < size0
v_cmp_lt_u32 s[56:57], v11, s[sgprSizeJ]           // coord1 < size1
s_and_b64 s[56:57], s[54:55], s[56:57]             // in0 && in1
v_mul_lo_u32 v9, v9, s[sgprStrideD1J]              // coord1 element offset =  coord1 * StrideD
_v_add_lshl_u32 v9, v9, v10, 0x1                   // scale to BPE
v_cndmask_b32 v9, -1, v9, s[56:57]                 // clip if OOB. offset
_buffer_store_b16 v13, v9, s[sgprSrdD:sgprSrdD+3], 0, offen, offset:0 // store D
_v_add_u32 v11, v5, 0                              // coord1 += nColPerLoad
_v_add_u32 v10, v4, 3                              // coord0 += element index of load vector
_v_add_u32 v9, v6, 0                               // offset coord1 += nColPerLoad
v_cmp_lt_u32 s[54:55], v10, s[sgprSizeI]           // coord0 < size0
v_cmp_lt_u32 s[56:57], v11, s[sgprSizeJ]           // coord1 < size1
s_and_b64 s[56:57], s[54:55], s[56:57]             // in0 && in1
v_mul_lo_u32 v9, v9, s[sgprStrideD1J]              // coord1 element offset =  coord1 * StrideD
_v_add_lshl_u32 v9, v9, v10, 0x1                   // scale to BPE
v_cndmask_b32 v9, -1, v9, s[56:57]                 // clip if OOB. offset
_buffer_store_d16_hi_b16 v13, v9, s[sgprSrdD:sgprSrdD+3], 0, offen, offset:0 // store D

s_barrier //wait all lds read finished
s_nop 0                                            // 1 wait state required when next inst writes vgprs held by previous dwordx4 store inst
/* optSingleColVgpr=0 optSharedColVgpr=0 optSGPRUsage=BufferLoad_Edge_Mask optSrdIncForRow=1 */

/******************************************/
/* Global Write Alpha Edge Batch #7 (d1,d0,vc1,vc0) = */
/*    (7,0,0,0:vw4)                       */
/******************************************/

/* calc coords, apply mask, and issue loads (if necessary) */
/* (d1,vc1,d0,vc0)=(7,0,0,0) */
_v_add_co_u32 v1, vcc, v1, 16                      // coord1.1: coord1Vgpr += d1*sg1*VW + vc1
_v_add_lshl_u32 v9, v3, v0, 0x1                    // scaleToBpe: accumulate d0 lower and *= bpe into Cin addr
v_accvgpr_read_b32 v[vgprValuC+12], acc28 // copy acc to vreg[28]
v_accvgpr_read_b32 v[vgprValuC+13], acc29 // copy acc to vreg[29]
v_accvgpr_read_b32 v[vgprValuC+14], acc30 // copy acc to vreg[30]
v_accvgpr_read_b32 v[vgprValuC+15], acc31 // copy acc to vreg[31]
s_nop 1                                            // 2 wait states required before reading vgpr

/* rC *= alpha batchElements=[(7, 0, 0, 0)] */
v_mul_f32 v[vgprValuC+12], s[sgprAlpha], v[vgprValuC+12] // *= alpha
v_mul_f32 v[vgprValuC+13], s[sgprAlpha], v[vgprValuC+13] // *= alpha
	;; [unrolled: 1-line block ×4, first 2 shown]

/* apply mask, calc new C and issue writes */

/* StoreRemap: shift coord1 address */
s_mul_i32 s54, s[sgprStrideD1J], 32                // scale StrideD *= numRows(16) * bpe
s_add_u32  s[sgprSrdD+0], s[sgprSrdD+0], s54       // incToNextRow: gra SRD += inc(lower)
s_addc_u32  s[sgprSrdD+1], s[sgprSrdD+1], 0        // incToNextRow: gra SRD += inc(upper)
v_mov_b32 v10, 16                                  // set shift rows
_v_add_u32 v5, v5, v10                             // shift storeRemap coord1
v_cvt_f16_f32 v[vgprValuC+12], v[vgprValuC+12]     // convert C to fp16
v_cvt_f16_f32 v[vgprValuC+13], v[vgprValuC+13]     // convert C to fp16
v_pack_b32_f16 v12, v[vgprValuC+12], v[vgprValuC+13] // Pack with neighbor
v_cvt_f16_f32 v[vgprValuC+14], v[vgprValuC+14]     // convert C to fp16
v_cvt_f16_f32 v[vgprValuC+15], v[vgprValuC+15]     // convert C to fp16
v_pack_b32_f16 v13, v[vgprValuC+14], v[vgprValuC+15] // Pack with neighbor
_ds_store_b64 v7, v[12:13], offset:0               // storeRemap lw

/* Handle local read and global write */
s_waitcnt lgkmcnt(0)                               // wait for LDS write
s_barrier //wait all lds write finished

_ds_load_b64 v[12:13], v8, offset:0                // storeRemap lr

s_waitcnt lgkmcnt(0)                               // wait for LDS read
_v_add_u32 v11, v5, 0                              // coord1 += nColPerLoad
_v_add_u32 v10, v4, 0                              // coord0 += element index of load vector
_v_add_u32 v9, v6, 0                               // offset coord1 += nColPerLoad
v_cmp_lt_u32 s[54:55], v10, s[sgprSizeI]           // coord0 < size0
v_cmp_lt_u32 s[56:57], v11, s[sgprSizeJ]           // coord1 < size1
s_and_b64 s[56:57], s[54:55], s[56:57]             // in0 && in1
v_mul_lo_u32 v9, v9, s[sgprStrideD1J]              // coord1 element offset =  coord1 * StrideD
_v_add_lshl_u32 v9, v9, v10, 0x1                   // scale to BPE
v_cndmask_b32 v9, -1, v9, s[56:57]                 // clip if OOB. offset
_buffer_store_b16 v12, v9, s[sgprSrdD:sgprSrdD+3], 0, offen, offset:0 // store D
_v_add_u32 v11, v5, 0                              // coord1 += nColPerLoad
_v_add_u32 v10, v4, 1                              // coord0 += element index of load vector
_v_add_u32 v9, v6, 0                               // offset coord1 += nColPerLoad
v_cmp_lt_u32 s[54:55], v10, s[sgprSizeI]           // coord0 < size0
v_cmp_lt_u32 s[56:57], v11, s[sgprSizeJ]           // coord1 < size1
s_and_b64 s[56:57], s[54:55], s[56:57]             // in0 && in1
v_mul_lo_u32 v9, v9, s[sgprStrideD1J]              // coord1 element offset =  coord1 * StrideD
_v_add_lshl_u32 v9, v9, v10, 0x1                   // scale to BPE
v_cndmask_b32 v9, -1, v9, s[56:57]                 // clip if OOB. offset
_buffer_store_d16_hi_b16 v12, v9, s[sgprSrdD:sgprSrdD+3], 0, offen, offset:0 // store D
_v_add_u32 v11, v5, 0                              // coord1 += nColPerLoad
_v_add_u32 v10, v4, 2                              // coord0 += element index of load vector
_v_add_u32 v9, v6, 0                               // offset coord1 += nColPerLoad
v_cmp_lt_u32 s[54:55], v10, s[sgprSizeI]           // coord0 < size0
v_cmp_lt_u32 s[56:57], v11, s[sgprSizeJ]           // coord1 < size1
s_and_b64 s[56:57], s[54:55], s[56:57]             // in0 && in1
v_mul_lo_u32 v9, v9, s[sgprStrideD1J]              // coord1 element offset =  coord1 * StrideD
_v_add_lshl_u32 v9, v9, v10, 0x1                   // scale to BPE
v_cndmask_b32 v9, -1, v9, s[56:57]                 // clip if OOB. offset
_buffer_store_b16 v13, v9, s[sgprSrdD:sgprSrdD+3], 0, offen, offset:0 // store D
_v_add_u32 v11, v5, 0                              // coord1 += nColPerLoad
_v_add_u32 v10, v4, 3                              // coord0 += element index of load vector
_v_add_u32 v9, v6, 0                               // offset coord1 += nColPerLoad
v_cmp_lt_u32 s[54:55], v10, s[sgprSizeI]           // coord0 < size0
v_cmp_lt_u32 s[56:57], v11, s[sgprSizeJ]           // coord1 < size1
s_and_b64 s[56:57], s[54:55], s[56:57]             // in0 && in1
v_mul_lo_u32 v9, v9, s[sgprStrideD1J]              // coord1 element offset =  coord1 * StrideD
_v_add_lshl_u32 v9, v9, v10, 0x1                   // scale to BPE
v_cndmask_b32 v9, -1, v9, s[56:57]                 // clip if OOB. offset
_buffer_store_d16_hi_b16 v13, v9, s[sgprSrdD:sgprSrdD+3], 0, offen, offset:0 // store D

s_barrier //wait all lds read finished
s_nop 0                                            // 1 wait state required when next inst writes vgprs held by previous dwordx4 store inst
/* optSingleColVgpr=0 optSharedColVgpr=0 optSGPRUsage=BufferLoad_Edge_Mask optSrdIncForRow=1 */

/******************************************/
/* Global Write Alpha Edge Batch #8 (d1,d0,vc1,vc0) = */
/*    (8,0,0,0:vw4)                       */
/******************************************/

/* calc coords, apply mask, and issue loads (if necessary) */
/* (d1,vc1,d0,vc0)=(8,0,0,0) */
_v_add_co_u32 v1, vcc, v1, 16                      // coord1.1: coord1Vgpr += d1*sg1*VW + vc1
_v_add_lshl_u32 v9, v3, v0, 0x1                    // scaleToBpe: accumulate d0 lower and *= bpe into Cin addr
v_accvgpr_read_b32 v[vgprValuC+12], acc32 // copy acc to vreg[32]
v_accvgpr_read_b32 v[vgprValuC+13], acc33 // copy acc to vreg[33]
v_accvgpr_read_b32 v[vgprValuC+14], acc34 // copy acc to vreg[34]
v_accvgpr_read_b32 v[vgprValuC+15], acc35 // copy acc to vreg[35]
s_nop 1                                            // 2 wait states required before reading vgpr

/* rC *= alpha batchElements=[(8, 0, 0, 0)] */
v_mul_f32 v[vgprValuC+12], s[sgprAlpha], v[vgprValuC+12] // *= alpha
v_mul_f32 v[vgprValuC+13], s[sgprAlpha], v[vgprValuC+13] // *= alpha
v_mul_f32 v[vgprValuC+14], s[sgprAlpha], v[vgprValuC+14] // *= alpha
v_mul_f32 v[vgprValuC+15], s[sgprAlpha], v[vgprValuC+15] // *= alpha

/* apply mask, calc new C and issue writes */

/* StoreRemap: shift coord1 address */
s_mul_i32 s54, s[sgprStrideD1J], 32                // scale StrideD *= numRows(16) * bpe
s_add_u32  s[sgprSrdD+0], s[sgprSrdD+0], s54       // incToNextRow: gra SRD += inc(lower)
s_addc_u32  s[sgprSrdD+1], s[sgprSrdD+1], 0        // incToNextRow: gra SRD += inc(upper)
v_mov_b32 v10, 16                                  // set shift rows
_v_add_u32 v5, v5, v10                             // shift storeRemap coord1
v_cvt_f16_f32 v[vgprValuC+12], v[vgprValuC+12]     // convert C to fp16
v_cvt_f16_f32 v[vgprValuC+13], v[vgprValuC+13]     // convert C to fp16
v_pack_b32_f16 v12, v[vgprValuC+12], v[vgprValuC+13] // Pack with neighbor
v_cvt_f16_f32 v[vgprValuC+14], v[vgprValuC+14]     // convert C to fp16
v_cvt_f16_f32 v[vgprValuC+15], v[vgprValuC+15]     // convert C to fp16
v_pack_b32_f16 v13, v[vgprValuC+14], v[vgprValuC+15] // Pack with neighbor
_ds_store_b64 v7, v[12:13], offset:0               // storeRemap lw

/* Handle local read and global write */
s_waitcnt lgkmcnt(0)                               // wait for LDS write
s_barrier //wait all lds write finished

_ds_load_b64 v[12:13], v8, offset:0                // storeRemap lr

s_waitcnt lgkmcnt(0)                               // wait for LDS read
_v_add_u32 v11, v5, 0                              // coord1 += nColPerLoad
_v_add_u32 v10, v4, 0                              // coord0 += element index of load vector
_v_add_u32 v9, v6, 0                               // offset coord1 += nColPerLoad
v_cmp_lt_u32 s[54:55], v10, s[sgprSizeI]           // coord0 < size0
v_cmp_lt_u32 s[56:57], v11, s[sgprSizeJ]           // coord1 < size1
s_and_b64 s[56:57], s[54:55], s[56:57]             // in0 && in1
v_mul_lo_u32 v9, v9, s[sgprStrideD1J]              // coord1 element offset =  coord1 * StrideD
_v_add_lshl_u32 v9, v9, v10, 0x1                   // scale to BPE
v_cndmask_b32 v9, -1, v9, s[56:57]                 // clip if OOB. offset
_buffer_store_b16 v12, v9, s[sgprSrdD:sgprSrdD+3], 0, offen, offset:0 // store D
_v_add_u32 v11, v5, 0                              // coord1 += nColPerLoad
_v_add_u32 v10, v4, 1                              // coord0 += element index of load vector
_v_add_u32 v9, v6, 0                               // offset coord1 += nColPerLoad
v_cmp_lt_u32 s[54:55], v10, s[sgprSizeI]           // coord0 < size0
v_cmp_lt_u32 s[56:57], v11, s[sgprSizeJ]           // coord1 < size1
s_and_b64 s[56:57], s[54:55], s[56:57]             // in0 && in1
v_mul_lo_u32 v9, v9, s[sgprStrideD1J]              // coord1 element offset =  coord1 * StrideD
_v_add_lshl_u32 v9, v9, v10, 0x1                   // scale to BPE
v_cndmask_b32 v9, -1, v9, s[56:57]                 // clip if OOB. offset
_buffer_store_d16_hi_b16 v12, v9, s[sgprSrdD:sgprSrdD+3], 0, offen, offset:0 // store D
_v_add_u32 v11, v5, 0                              // coord1 += nColPerLoad
_v_add_u32 v10, v4, 2                              // coord0 += element index of load vector
_v_add_u32 v9, v6, 0                               // offset coord1 += nColPerLoad
v_cmp_lt_u32 s[54:55], v10, s[sgprSizeI]           // coord0 < size0
v_cmp_lt_u32 s[56:57], v11, s[sgprSizeJ]           // coord1 < size1
s_and_b64 s[56:57], s[54:55], s[56:57]             // in0 && in1
v_mul_lo_u32 v9, v9, s[sgprStrideD1J]              // coord1 element offset =  coord1 * StrideD
_v_add_lshl_u32 v9, v9, v10, 0x1                   // scale to BPE
v_cndmask_b32 v9, -1, v9, s[56:57]                 // clip if OOB. offset
_buffer_store_b16 v13, v9, s[sgprSrdD:sgprSrdD+3], 0, offen, offset:0 // store D
_v_add_u32 v11, v5, 0                              // coord1 += nColPerLoad
_v_add_u32 v10, v4, 3                              // coord0 += element index of load vector
_v_add_u32 v9, v6, 0                               // offset coord1 += nColPerLoad
v_cmp_lt_u32 s[54:55], v10, s[sgprSizeI]           // coord0 < size0
v_cmp_lt_u32 s[56:57], v11, s[sgprSizeJ]           // coord1 < size1
s_and_b64 s[56:57], s[54:55], s[56:57]             // in0 && in1
v_mul_lo_u32 v9, v9, s[sgprStrideD1J]              // coord1 element offset =  coord1 * StrideD
_v_add_lshl_u32 v9, v9, v10, 0x1                   // scale to BPE
v_cndmask_b32 v9, -1, v9, s[56:57]                 // clip if OOB. offset
_buffer_store_d16_hi_b16 v13, v9, s[sgprSrdD:sgprSrdD+3], 0, offen, offset:0 // store D

s_barrier //wait all lds read finished
s_nop 0                                            // 1 wait state required when next inst writes vgprs held by previous dwordx4 store inst
s_branch label_GW_End_88                           // jump to end
GW_Beta_89:
s_and_b32 s54, 63, s[sgprSizeI]                    // s54 = s[sgprSizeI] % 64
s_add_u32 s55, -0x1, s[sgprNumWorkGroups0]         // 
s_cmp_ge_u32 s[sgprWorkGroup0], s55                // wg0 >= nwg0-1 ?
s_cselect_b32 s54, s54, 0                          // set rMT0
s_cmpk_gt_u32 s54, 0x0                             // rMT0 > 0
s_cbranch_scc1 GW_B1_E1_87                         // jump if edges required
s_mov_b32 s57, 0x0                                 // STATIC_DIV: divisior=144
s_mul_i32 s56, 0x38e, s[sgprSizeJ]                 // tmp1 = dividend * magic hi
s_lshl_b64 s[56:57], s[56:57], 0x10                // left shift 16 bits
s_mul_i32 s55, s[sgprSizeJ], 0x38e4                // tmp0 = dividend * magic lo
s_add_u32 s56, s55, s56                            // add lo
s_addc_u32 s57, s57, 0x0                           // add hi
s_lshr_b64 s[56:57], s[56:57], 0x21                // tmp1 = (dividend * magic) << shift
s_mov_b32 s55, s56                                 // quotient
s_mul_i32 s56, s55, 0x90                           // quotient*divisor
s_sub_u32 s54, s[sgprSizeJ], s56                   // rReg = dividend - quotient*divisor
s_add_u32 s55, -0x1, s[sgprNumWorkGroups1]         // 
s_cmp_ge_u32 s[sgprWorkGroup1], s55                // wg1 >= nwg1-1
s_cselect_b32 s54, s54, 0                          // set rMT1
s_cmpk_gt_u32 s54, 0x0                             // rMT1 > 0
s_cbranch_scc1 GW_B1_E1_87                         // jump if edges required
GW_B1_E0_84:

/* edge=0, allocate 2 sgpr. perBatchTmpS=2 perBatchMaskS=0 perElementMaskS=0 elementsPerBatch=1 */
/* optSingleColVgpr=1 optSharedColVgpr=0 optSGPRUsage=BufferLoad_Mask optSrdIncForRow=1 */

/******************************************/
/* Global Write Alpha Beta Batch #0 (d1,d0,vc1,vc0) = */
/*    (0,0,0,0:vw4)                       */
/******************************************/

/* calc coords, apply mask, and issue loads (if necessary) */
/* (d1,vc1,d0,vc0)=(0,0,0,0) */
_v_add_lshl_u32 v12, v2, v0, 0x1                   // optSingleColVgpr scaleToBpe: sharedAddrVgpr <- cinRowPtr + coord0, scaled by BPE. BSHERE:coord0=0, coord0Vgpr=0
_buffer_load_b64 v[14:15], v12, s[sgprSrdC:sgprSrdC+3], 0, offen offset:0 // load C for beta calc
_v_add_lshl_u32 v9, v3, v0, 0x1                    // optSingleColVgpr scaleToBpe: sharedAddrVgpr <- cinRowPtr + coord0, scaled by BPE. BSHERE:coord0=0, coord0Vgpr=0
v_accvgpr_read_b32 v[vgprValuC+16], acc0 // copy acc to vreg[0]
v_accvgpr_read_b32 v[vgprValuC+17], acc1 // copy acc to vreg[1]
v_accvgpr_read_b32 v[vgprValuC+18], acc2 // copy acc to vreg[2]
v_accvgpr_read_b32 v[vgprValuC+19], acc3 // copy acc to vreg[3]
s_nop 1                                            // 2 wait states required before reading vgpr

/* rC *= alpha batchElements=[(0, 0, 0, 0)] */
v_mul_f32 v[vgprValuC+16], s[sgprAlpha], v[vgprValuC+16] // *= alpha
v_mul_f32 v[vgprValuC+17], s[sgprAlpha], v[vgprValuC+17] // *= alpha
	;; [unrolled: 1-line block ×4, first 2 shown]

/* apply mask, calc new C and issue writes */

s_waitcnt vmcnt(0)                                 // wait C (interleaved) 0 = 1 - 0 + 0 - 1
v_fma_mix_f32 v[vgprValuC+16], s[sgprBeta], v14, v[vgprValuC+16], op_sel:[0,0,0] op_sel_hi:[0,1,0] // //C*=beta
v_fma_mix_f32 v[vgprValuC+17], s[sgprBeta], v14, v[vgprValuC+17], op_sel:[0,1,0] op_sel_hi:[0,1,0] // //C*=beta
	;; [unrolled: 1-line block ×4, first 2 shown]
v_cvt_f16_f32 v[vgprValuC+16], v[vgprValuC+16]     // convert C to fp16
v_cvt_f16_f32 v[vgprValuC+17], v[vgprValuC+17]     // convert C to fp16
v_pack_b32_f16 v16, v[vgprValuC+16], v[vgprValuC+17] // Pack with neighbor
v_cvt_f16_f32 v[vgprValuC+18], v[vgprValuC+18]     // convert C to fp16
v_cvt_f16_f32 v[vgprValuC+19], v[vgprValuC+19]     // convert C to fp16
v_pack_b32_f16 v17, v[vgprValuC+18], v[vgprValuC+19] // Pack with neighbor
_ds_store_b64 v7, v[16:17], offset:0               // storeRemap lw

/* Handle local read and global write */
s_waitcnt lgkmcnt(0)                               // wait for LDS write
s_barrier //wait all lds write finished

_ds_load_b64 v[14:15], v8, offset:0                // storeRemap lr

v_mov_b32 v13, v6                                  // coord1
v_mul_lo_u32 v13, v13, s[sgprStrideD1J]            // coord1 offset =  coord1 * StrideD
_v_add_lshl_u32 v13, v13, v4, 0x1                  // global write D address
s_waitcnt lgkmcnt(0)                               // wait for LDS read
_buffer_store_b64 v[14:15], v13, s[sgprSrdD:sgprSrdD+3], 0, offen, offset:0 // store D

s_barrier //wait all lds read finished
s_nop 0                                            // 1 wait state required when next inst writes vgprs held by previous dwordx4 store inst
/* optSingleColVgpr=1 optSharedColVgpr=0 optSGPRUsage=BufferLoad_Mask optSrdIncForRow=1 */

/******************************************/
/* Global Write Alpha Beta Batch #1 (d1,d0,vc1,vc0) = */
/*    (1,0,0,0:vw4)                       */
/******************************************/

/* calc coords, apply mask, and issue loads (if necessary) */
/* (d1,vc1,d0,vc0)=(1,0,0,0) */
s_mul_i32 s54, s[sgprStrideC1J], 32                // scale StrideC *= numRows(16) * bpe
s_add_u32  s[sgprSrdC+0], s[sgprSrdC+0], s54       // incToNextRow: gra SRD += inc(lower)
s_addc_u32  s[sgprSrdC+1], s[sgprSrdC+1], 0        // incToNextRow: gra SRD += inc(upper)
_buffer_load_b64 v[14:15], v12, s[sgprSrdC:sgprSrdC+3], 0, offen offset:0 // load C for beta calc
v_accvgpr_read_b32 v[vgprValuC+16], acc4 // copy acc to vreg[4]
v_accvgpr_read_b32 v[vgprValuC+17], acc5 // copy acc to vreg[5]
v_accvgpr_read_b32 v[vgprValuC+18], acc6 // copy acc to vreg[6]
v_accvgpr_read_b32 v[vgprValuC+19], acc7 // copy acc to vreg[7]
s_nop 1                                            // 2 wait states required before reading vgpr

/* rC *= alpha batchElements=[(1, 0, 0, 0)] */
v_mul_f32 v[vgprValuC+16], s[sgprAlpha], v[vgprValuC+16] // *= alpha
v_mul_f32 v[vgprValuC+17], s[sgprAlpha], v[vgprValuC+17] // *= alpha
	;; [unrolled: 1-line block ×4, first 2 shown]

/* apply mask, calc new C and issue writes */

/* StoreRemap: shift coord1 address */
s_mul_i32 s54, s[sgprStrideD1J], 32                // scale StrideD *= numRows(16) * bpe
s_add_u32  s[sgprSrdD+0], s[sgprSrdD+0], s54       // incToNextRow: gra SRD += inc(lower)
s_addc_u32  s[sgprSrdD+1], s[sgprSrdD+1], 0        // incToNextRow: gra SRD += inc(upper)
v_mov_b32 v10, 16                                  // set shift rows
_v_add_u32 v5, v5, v10                             // shift storeRemap coord1

s_waitcnt vmcnt(0)                                 // wait C (interleaved) 0 = 1 - 0 + 0 - 1
v_fma_mix_f32 v[vgprValuC+16], s[sgprBeta], v14, v[vgprValuC+16], op_sel:[0,0,0] op_sel_hi:[0,1,0] // //C*=beta
v_fma_mix_f32 v[vgprValuC+17], s[sgprBeta], v14, v[vgprValuC+17], op_sel:[0,1,0] op_sel_hi:[0,1,0] // //C*=beta
	;; [unrolled: 1-line block ×4, first 2 shown]
v_cvt_f16_f32 v[vgprValuC+16], v[vgprValuC+16]     // convert C to fp16
v_cvt_f16_f32 v[vgprValuC+17], v[vgprValuC+17]     // convert C to fp16
v_pack_b32_f16 v16, v[vgprValuC+16], v[vgprValuC+17] // Pack with neighbor
v_cvt_f16_f32 v[vgprValuC+18], v[vgprValuC+18]     // convert C to fp16
v_cvt_f16_f32 v[vgprValuC+19], v[vgprValuC+19]     // convert C to fp16
v_pack_b32_f16 v17, v[vgprValuC+18], v[vgprValuC+19] // Pack with neighbor
_ds_store_b64 v7, v[16:17], offset:0               // storeRemap lw

/* Handle local read and global write */
s_waitcnt lgkmcnt(0)                               // wait for LDS write
s_barrier //wait all lds write finished

_ds_load_b64 v[14:15], v8, offset:0                // storeRemap lr

v_mov_b32 v13, v6                                  // coord1
v_mul_lo_u32 v13, v13, s[sgprStrideD1J]            // coord1 offset =  coord1 * StrideD
_v_add_lshl_u32 v13, v13, v4, 0x1                  // global write D address
s_waitcnt lgkmcnt(0)                               // wait for LDS read
_buffer_store_b64 v[14:15], v13, s[sgprSrdD:sgprSrdD+3], 0, offen, offset:0 // store D

s_barrier //wait all lds read finished
s_nop 0                                            // 1 wait state required when next inst writes vgprs held by previous dwordx4 store inst
/* optSingleColVgpr=1 optSharedColVgpr=0 optSGPRUsage=BufferLoad_Mask optSrdIncForRow=1 */

/******************************************/
/* Global Write Alpha Beta Batch #2 (d1,d0,vc1,vc0) = */
/*    (2,0,0,0:vw4)                       */
/******************************************/

/* calc coords, apply mask, and issue loads (if necessary) */
/* (d1,vc1,d0,vc0)=(2,0,0,0) */
s_mul_i32 s54, s[sgprStrideC1J], 32                // scale StrideC *= numRows(16) * bpe
s_add_u32  s[sgprSrdC+0], s[sgprSrdC+0], s54       // incToNextRow: gra SRD += inc(lower)
s_addc_u32  s[sgprSrdC+1], s[sgprSrdC+1], 0        // incToNextRow: gra SRD += inc(upper)
_buffer_load_b64 v[14:15], v12, s[sgprSrdC:sgprSrdC+3], 0, offen offset:0 // load C for beta calc
v_accvgpr_read_b32 v[vgprValuC+16], acc8 // copy acc to vreg[8]
v_accvgpr_read_b32 v[vgprValuC+17], acc9 // copy acc to vreg[9]
v_accvgpr_read_b32 v[vgprValuC+18], acc10 // copy acc to vreg[10]
v_accvgpr_read_b32 v[vgprValuC+19], acc11 // copy acc to vreg[11]
s_nop 1                                            // 2 wait states required before reading vgpr

/* rC *= alpha batchElements=[(2, 0, 0, 0)] */
v_mul_f32 v[vgprValuC+16], s[sgprAlpha], v[vgprValuC+16] // *= alpha
v_mul_f32 v[vgprValuC+17], s[sgprAlpha], v[vgprValuC+17] // *= alpha
	;; [unrolled: 1-line block ×4, first 2 shown]

/* apply mask, calc new C and issue writes */

/* StoreRemap: shift coord1 address */
s_mul_i32 s54, s[sgprStrideD1J], 32                // scale StrideD *= numRows(16) * bpe
s_add_u32  s[sgprSrdD+0], s[sgprSrdD+0], s54       // incToNextRow: gra SRD += inc(lower)
s_addc_u32  s[sgprSrdD+1], s[sgprSrdD+1], 0        // incToNextRow: gra SRD += inc(upper)
v_mov_b32 v10, 16                                  // set shift rows
_v_add_u32 v5, v5, v10                             // shift storeRemap coord1

s_waitcnt vmcnt(0)                                 // wait C (interleaved) 0 = 1 - 0 + 0 - 1
v_fma_mix_f32 v[vgprValuC+16], s[sgprBeta], v14, v[vgprValuC+16], op_sel:[0,0,0] op_sel_hi:[0,1,0] // //C*=beta
v_fma_mix_f32 v[vgprValuC+17], s[sgprBeta], v14, v[vgprValuC+17], op_sel:[0,1,0] op_sel_hi:[0,1,0] // //C*=beta
	;; [unrolled: 1-line block ×4, first 2 shown]
v_cvt_f16_f32 v[vgprValuC+16], v[vgprValuC+16]     // convert C to fp16
v_cvt_f16_f32 v[vgprValuC+17], v[vgprValuC+17]     // convert C to fp16
v_pack_b32_f16 v16, v[vgprValuC+16], v[vgprValuC+17] // Pack with neighbor
v_cvt_f16_f32 v[vgprValuC+18], v[vgprValuC+18]     // convert C to fp16
v_cvt_f16_f32 v[vgprValuC+19], v[vgprValuC+19]     // convert C to fp16
v_pack_b32_f16 v17, v[vgprValuC+18], v[vgprValuC+19] // Pack with neighbor
_ds_store_b64 v7, v[16:17], offset:0               // storeRemap lw

/* Handle local read and global write */
s_waitcnt lgkmcnt(0)                               // wait for LDS write
s_barrier //wait all lds write finished

_ds_load_b64 v[14:15], v8, offset:0                // storeRemap lr

v_mov_b32 v13, v6                                  // coord1
v_mul_lo_u32 v13, v13, s[sgprStrideD1J]            // coord1 offset =  coord1 * StrideD
_v_add_lshl_u32 v13, v13, v4, 0x1                  // global write D address
s_waitcnt lgkmcnt(0)                               // wait for LDS read
_buffer_store_b64 v[14:15], v13, s[sgprSrdD:sgprSrdD+3], 0, offen, offset:0 // store D

s_barrier //wait all lds read finished
s_nop 0                                            // 1 wait state required when next inst writes vgprs held by previous dwordx4 store inst
/* optSingleColVgpr=1 optSharedColVgpr=0 optSGPRUsage=BufferLoad_Mask optSrdIncForRow=1 */

/******************************************/
/* Global Write Alpha Beta Batch #3 (d1,d0,vc1,vc0) = */
/*    (3,0,0,0:vw4)                       */
/******************************************/

/* calc coords, apply mask, and issue loads (if necessary) */
/* (d1,vc1,d0,vc0)=(3,0,0,0) */
s_mul_i32 s54, s[sgprStrideC1J], 32                // scale StrideC *= numRows(16) * bpe
s_add_u32  s[sgprSrdC+0], s[sgprSrdC+0], s54       // incToNextRow: gra SRD += inc(lower)
s_addc_u32  s[sgprSrdC+1], s[sgprSrdC+1], 0        // incToNextRow: gra SRD += inc(upper)
_buffer_load_b64 v[14:15], v12, s[sgprSrdC:sgprSrdC+3], 0, offen offset:0 // load C for beta calc
v_accvgpr_read_b32 v[vgprValuC+16], acc12 // copy acc to vreg[12]
v_accvgpr_read_b32 v[vgprValuC+17], acc13 // copy acc to vreg[13]
v_accvgpr_read_b32 v[vgprValuC+18], acc14 // copy acc to vreg[14]
v_accvgpr_read_b32 v[vgprValuC+19], acc15 // copy acc to vreg[15]
s_nop 1                                            // 2 wait states required before reading vgpr

/* rC *= alpha batchElements=[(3, 0, 0, 0)] */
v_mul_f32 v[vgprValuC+16], s[sgprAlpha], v[vgprValuC+16] // *= alpha
v_mul_f32 v[vgprValuC+17], s[sgprAlpha], v[vgprValuC+17] // *= alpha
	;; [unrolled: 1-line block ×4, first 2 shown]

/* apply mask, calc new C and issue writes */

/* StoreRemap: shift coord1 address */
s_mul_i32 s54, s[sgprStrideD1J], 32                // scale StrideD *= numRows(16) * bpe
s_add_u32  s[sgprSrdD+0], s[sgprSrdD+0], s54       // incToNextRow: gra SRD += inc(lower)
s_addc_u32  s[sgprSrdD+1], s[sgprSrdD+1], 0        // incToNextRow: gra SRD += inc(upper)
v_mov_b32 v10, 16                                  // set shift rows
_v_add_u32 v5, v5, v10                             // shift storeRemap coord1

s_waitcnt vmcnt(0)                                 // wait C (interleaved) 0 = 1 - 0 + 0 - 1
v_fma_mix_f32 v[vgprValuC+16], s[sgprBeta], v14, v[vgprValuC+16], op_sel:[0,0,0] op_sel_hi:[0,1,0] // //C*=beta
v_fma_mix_f32 v[vgprValuC+17], s[sgprBeta], v14, v[vgprValuC+17], op_sel:[0,1,0] op_sel_hi:[0,1,0] // //C*=beta
	;; [unrolled: 1-line block ×4, first 2 shown]
v_cvt_f16_f32 v[vgprValuC+16], v[vgprValuC+16]     // convert C to fp16
v_cvt_f16_f32 v[vgprValuC+17], v[vgprValuC+17]     // convert C to fp16
v_pack_b32_f16 v16, v[vgprValuC+16], v[vgprValuC+17] // Pack with neighbor
v_cvt_f16_f32 v[vgprValuC+18], v[vgprValuC+18]     // convert C to fp16
v_cvt_f16_f32 v[vgprValuC+19], v[vgprValuC+19]     // convert C to fp16
v_pack_b32_f16 v17, v[vgprValuC+18], v[vgprValuC+19] // Pack with neighbor
_ds_store_b64 v7, v[16:17], offset:0               // storeRemap lw

/* Handle local read and global write */
s_waitcnt lgkmcnt(0)                               // wait for LDS write
s_barrier //wait all lds write finished

_ds_load_b64 v[14:15], v8, offset:0                // storeRemap lr

v_mov_b32 v13, v6                                  // coord1
v_mul_lo_u32 v13, v13, s[sgprStrideD1J]            // coord1 offset =  coord1 * StrideD
_v_add_lshl_u32 v13, v13, v4, 0x1                  // global write D address
s_waitcnt lgkmcnt(0)                               // wait for LDS read
_buffer_store_b64 v[14:15], v13, s[sgprSrdD:sgprSrdD+3], 0, offen, offset:0 // store D

s_barrier //wait all lds read finished
s_nop 0                                            // 1 wait state required when next inst writes vgprs held by previous dwordx4 store inst
/* optSingleColVgpr=1 optSharedColVgpr=0 optSGPRUsage=BufferLoad_Mask optSrdIncForRow=1 */

/******************************************/
/* Global Write Alpha Beta Batch #4 (d1,d0,vc1,vc0) = */
/*    (4,0,0,0:vw4)                       */
/******************************************/

/* calc coords, apply mask, and issue loads (if necessary) */
/* (d1,vc1,d0,vc0)=(4,0,0,0) */
s_mul_i32 s54, s[sgprStrideC1J], 32                // scale StrideC *= numRows(16) * bpe
s_add_u32  s[sgprSrdC+0], s[sgprSrdC+0], s54       // incToNextRow: gra SRD += inc(lower)
s_addc_u32  s[sgprSrdC+1], s[sgprSrdC+1], 0        // incToNextRow: gra SRD += inc(upper)
_buffer_load_b64 v[14:15], v12, s[sgprSrdC:sgprSrdC+3], 0, offen offset:0 // load C for beta calc
v_accvgpr_read_b32 v[vgprValuC+16], acc16 // copy acc to vreg[16]
v_accvgpr_read_b32 v[vgprValuC+17], acc17 // copy acc to vreg[17]
v_accvgpr_read_b32 v[vgprValuC+18], acc18 // copy acc to vreg[18]
v_accvgpr_read_b32 v[vgprValuC+19], acc19 // copy acc to vreg[19]
s_nop 1                                            // 2 wait states required before reading vgpr

/* rC *= alpha batchElements=[(4, 0, 0, 0)] */
v_mul_f32 v[vgprValuC+16], s[sgprAlpha], v[vgprValuC+16] // *= alpha
v_mul_f32 v[vgprValuC+17], s[sgprAlpha], v[vgprValuC+17] // *= alpha
	;; [unrolled: 1-line block ×4, first 2 shown]

/* apply mask, calc new C and issue writes */

/* StoreRemap: shift coord1 address */
s_mul_i32 s54, s[sgprStrideD1J], 32                // scale StrideD *= numRows(16) * bpe
s_add_u32  s[sgprSrdD+0], s[sgprSrdD+0], s54       // incToNextRow: gra SRD += inc(lower)
s_addc_u32  s[sgprSrdD+1], s[sgprSrdD+1], 0        // incToNextRow: gra SRD += inc(upper)
v_mov_b32 v10, 16                                  // set shift rows
_v_add_u32 v5, v5, v10                             // shift storeRemap coord1

s_waitcnt vmcnt(0)                                 // wait C (interleaved) 0 = 1 - 0 + 0 - 1
v_fma_mix_f32 v[vgprValuC+16], s[sgprBeta], v14, v[vgprValuC+16], op_sel:[0,0,0] op_sel_hi:[0,1,0] // //C*=beta
v_fma_mix_f32 v[vgprValuC+17], s[sgprBeta], v14, v[vgprValuC+17], op_sel:[0,1,0] op_sel_hi:[0,1,0] // //C*=beta
	;; [unrolled: 1-line block ×4, first 2 shown]
v_cvt_f16_f32 v[vgprValuC+16], v[vgprValuC+16]     // convert C to fp16
v_cvt_f16_f32 v[vgprValuC+17], v[vgprValuC+17]     // convert C to fp16
v_pack_b32_f16 v16, v[vgprValuC+16], v[vgprValuC+17] // Pack with neighbor
v_cvt_f16_f32 v[vgprValuC+18], v[vgprValuC+18]     // convert C to fp16
v_cvt_f16_f32 v[vgprValuC+19], v[vgprValuC+19]     // convert C to fp16
v_pack_b32_f16 v17, v[vgprValuC+18], v[vgprValuC+19] // Pack with neighbor
_ds_store_b64 v7, v[16:17], offset:0               // storeRemap lw

/* Handle local read and global write */
s_waitcnt lgkmcnt(0)                               // wait for LDS write
s_barrier //wait all lds write finished

_ds_load_b64 v[14:15], v8, offset:0                // storeRemap lr

v_mov_b32 v13, v6                                  // coord1
v_mul_lo_u32 v13, v13, s[sgprStrideD1J]            // coord1 offset =  coord1 * StrideD
_v_add_lshl_u32 v13, v13, v4, 0x1                  // global write D address
s_waitcnt lgkmcnt(0)                               // wait for LDS read
_buffer_store_b64 v[14:15], v13, s[sgprSrdD:sgprSrdD+3], 0, offen, offset:0 // store D

s_barrier //wait all lds read finished
s_nop 0                                            // 1 wait state required when next inst writes vgprs held by previous dwordx4 store inst
/* optSingleColVgpr=1 optSharedColVgpr=0 optSGPRUsage=BufferLoad_Mask optSrdIncForRow=1 */

/******************************************/
/* Global Write Alpha Beta Batch #5 (d1,d0,vc1,vc0) = */
/*    (5,0,0,0:vw4)                       */
/******************************************/

/* calc coords, apply mask, and issue loads (if necessary) */
/* (d1,vc1,d0,vc0)=(5,0,0,0) */
s_mul_i32 s54, s[sgprStrideC1J], 32                // scale StrideC *= numRows(16) * bpe
s_add_u32  s[sgprSrdC+0], s[sgprSrdC+0], s54       // incToNextRow: gra SRD += inc(lower)
s_addc_u32  s[sgprSrdC+1], s[sgprSrdC+1], 0        // incToNextRow: gra SRD += inc(upper)
_buffer_load_b64 v[14:15], v12, s[sgprSrdC:sgprSrdC+3], 0, offen offset:0 // load C for beta calc
v_accvgpr_read_b32 v[vgprValuC+16], acc20 // copy acc to vreg[20]
v_accvgpr_read_b32 v[vgprValuC+17], acc21 // copy acc to vreg[21]
v_accvgpr_read_b32 v[vgprValuC+18], acc22 // copy acc to vreg[22]
v_accvgpr_read_b32 v[vgprValuC+19], acc23 // copy acc to vreg[23]
s_nop 1                                            // 2 wait states required before reading vgpr

/* rC *= alpha batchElements=[(5, 0, 0, 0)] */
v_mul_f32 v[vgprValuC+16], s[sgprAlpha], v[vgprValuC+16] // *= alpha
v_mul_f32 v[vgprValuC+17], s[sgprAlpha], v[vgprValuC+17] // *= alpha
	;; [unrolled: 1-line block ×4, first 2 shown]

/* apply mask, calc new C and issue writes */

/* StoreRemap: shift coord1 address */
s_mul_i32 s54, s[sgprStrideD1J], 32                // scale StrideD *= numRows(16) * bpe
s_add_u32  s[sgprSrdD+0], s[sgprSrdD+0], s54       // incToNextRow: gra SRD += inc(lower)
s_addc_u32  s[sgprSrdD+1], s[sgprSrdD+1], 0        // incToNextRow: gra SRD += inc(upper)
v_mov_b32 v10, 16                                  // set shift rows
_v_add_u32 v5, v5, v10                             // shift storeRemap coord1

s_waitcnt vmcnt(0)                                 // wait C (interleaved) 0 = 1 - 0 + 0 - 1
v_fma_mix_f32 v[vgprValuC+16], s[sgprBeta], v14, v[vgprValuC+16], op_sel:[0,0,0] op_sel_hi:[0,1,0] // //C*=beta
v_fma_mix_f32 v[vgprValuC+17], s[sgprBeta], v14, v[vgprValuC+17], op_sel:[0,1,0] op_sel_hi:[0,1,0] // //C*=beta
	;; [unrolled: 1-line block ×4, first 2 shown]
v_cvt_f16_f32 v[vgprValuC+16], v[vgprValuC+16]     // convert C to fp16
v_cvt_f16_f32 v[vgprValuC+17], v[vgprValuC+17]     // convert C to fp16
v_pack_b32_f16 v16, v[vgprValuC+16], v[vgprValuC+17] // Pack with neighbor
v_cvt_f16_f32 v[vgprValuC+18], v[vgprValuC+18]     // convert C to fp16
v_cvt_f16_f32 v[vgprValuC+19], v[vgprValuC+19]     // convert C to fp16
v_pack_b32_f16 v17, v[vgprValuC+18], v[vgprValuC+19] // Pack with neighbor
_ds_store_b64 v7, v[16:17], offset:0               // storeRemap lw

/* Handle local read and global write */
s_waitcnt lgkmcnt(0)                               // wait for LDS write
s_barrier //wait all lds write finished

_ds_load_b64 v[14:15], v8, offset:0                // storeRemap lr

v_mov_b32 v13, v6                                  // coord1
v_mul_lo_u32 v13, v13, s[sgprStrideD1J]            // coord1 offset =  coord1 * StrideD
_v_add_lshl_u32 v13, v13, v4, 0x1                  // global write D address
s_waitcnt lgkmcnt(0)                               // wait for LDS read
_buffer_store_b64 v[14:15], v13, s[sgprSrdD:sgprSrdD+3], 0, offen, offset:0 // store D

s_barrier //wait all lds read finished
s_nop 0                                            // 1 wait state required when next inst writes vgprs held by previous dwordx4 store inst
/* optSingleColVgpr=1 optSharedColVgpr=0 optSGPRUsage=BufferLoad_Mask optSrdIncForRow=1 */

/******************************************/
/* Global Write Alpha Beta Batch #6 (d1,d0,vc1,vc0) = */
/*    (6,0,0,0:vw4)                       */
/******************************************/

/* calc coords, apply mask, and issue loads (if necessary) */
/* (d1,vc1,d0,vc0)=(6,0,0,0) */
s_mul_i32 s54, s[sgprStrideC1J], 32                // scale StrideC *= numRows(16) * bpe
s_add_u32  s[sgprSrdC+0], s[sgprSrdC+0], s54       // incToNextRow: gra SRD += inc(lower)
s_addc_u32  s[sgprSrdC+1], s[sgprSrdC+1], 0        // incToNextRow: gra SRD += inc(upper)
_buffer_load_b64 v[14:15], v12, s[sgprSrdC:sgprSrdC+3], 0, offen offset:0 // load C for beta calc
v_accvgpr_read_b32 v[vgprValuC+16], acc24 // copy acc to vreg[24]
v_accvgpr_read_b32 v[vgprValuC+17], acc25 // copy acc to vreg[25]
v_accvgpr_read_b32 v[vgprValuC+18], acc26 // copy acc to vreg[26]
v_accvgpr_read_b32 v[vgprValuC+19], acc27 // copy acc to vreg[27]
s_nop 1                                            // 2 wait states required before reading vgpr

/* rC *= alpha batchElements=[(6, 0, 0, 0)] */
v_mul_f32 v[vgprValuC+16], s[sgprAlpha], v[vgprValuC+16] // *= alpha
v_mul_f32 v[vgprValuC+17], s[sgprAlpha], v[vgprValuC+17] // *= alpha
	;; [unrolled: 1-line block ×4, first 2 shown]

/* apply mask, calc new C and issue writes */

/* StoreRemap: shift coord1 address */
s_mul_i32 s54, s[sgprStrideD1J], 32                // scale StrideD *= numRows(16) * bpe
s_add_u32  s[sgprSrdD+0], s[sgprSrdD+0], s54       // incToNextRow: gra SRD += inc(lower)
s_addc_u32  s[sgprSrdD+1], s[sgprSrdD+1], 0        // incToNextRow: gra SRD += inc(upper)
v_mov_b32 v10, 16                                  // set shift rows
_v_add_u32 v5, v5, v10                             // shift storeRemap coord1

s_waitcnt vmcnt(0)                                 // wait C (interleaved) 0 = 1 - 0 + 0 - 1
v_fma_mix_f32 v[vgprValuC+16], s[sgprBeta], v14, v[vgprValuC+16], op_sel:[0,0,0] op_sel_hi:[0,1,0] // //C*=beta
v_fma_mix_f32 v[vgprValuC+17], s[sgprBeta], v14, v[vgprValuC+17], op_sel:[0,1,0] op_sel_hi:[0,1,0] // //C*=beta
	;; [unrolled: 1-line block ×4, first 2 shown]
v_cvt_f16_f32 v[vgprValuC+16], v[vgprValuC+16]     // convert C to fp16
v_cvt_f16_f32 v[vgprValuC+17], v[vgprValuC+17]     // convert C to fp16
v_pack_b32_f16 v16, v[vgprValuC+16], v[vgprValuC+17] // Pack with neighbor
v_cvt_f16_f32 v[vgprValuC+18], v[vgprValuC+18]     // convert C to fp16
v_cvt_f16_f32 v[vgprValuC+19], v[vgprValuC+19]     // convert C to fp16
v_pack_b32_f16 v17, v[vgprValuC+18], v[vgprValuC+19] // Pack with neighbor
_ds_store_b64 v7, v[16:17], offset:0               // storeRemap lw

/* Handle local read and global write */
s_waitcnt lgkmcnt(0)                               // wait for LDS write
s_barrier //wait all lds write finished

_ds_load_b64 v[14:15], v8, offset:0                // storeRemap lr

v_mov_b32 v13, v6                                  // coord1
v_mul_lo_u32 v13, v13, s[sgprStrideD1J]            // coord1 offset =  coord1 * StrideD
_v_add_lshl_u32 v13, v13, v4, 0x1                  // global write D address
s_waitcnt lgkmcnt(0)                               // wait for LDS read
_buffer_store_b64 v[14:15], v13, s[sgprSrdD:sgprSrdD+3], 0, offen, offset:0 // store D

s_barrier //wait all lds read finished
s_nop 0                                            // 1 wait state required when next inst writes vgprs held by previous dwordx4 store inst
/* optSingleColVgpr=1 optSharedColVgpr=0 optSGPRUsage=BufferLoad_Mask optSrdIncForRow=1 */

/******************************************/
/* Global Write Alpha Beta Batch #7 (d1,d0,vc1,vc0) = */
/*    (7,0,0,0:vw4)                       */
/******************************************/

/* calc coords, apply mask, and issue loads (if necessary) */
/* (d1,vc1,d0,vc0)=(7,0,0,0) */
s_mul_i32 s54, s[sgprStrideC1J], 32                // scale StrideC *= numRows(16) * bpe
s_add_u32  s[sgprSrdC+0], s[sgprSrdC+0], s54       // incToNextRow: gra SRD += inc(lower)
s_addc_u32  s[sgprSrdC+1], s[sgprSrdC+1], 0        // incToNextRow: gra SRD += inc(upper)
_buffer_load_b64 v[14:15], v12, s[sgprSrdC:sgprSrdC+3], 0, offen offset:0 // load C for beta calc
v_accvgpr_read_b32 v[vgprValuC+16], acc28 // copy acc to vreg[28]
v_accvgpr_read_b32 v[vgprValuC+17], acc29 // copy acc to vreg[29]
v_accvgpr_read_b32 v[vgprValuC+18], acc30 // copy acc to vreg[30]
v_accvgpr_read_b32 v[vgprValuC+19], acc31 // copy acc to vreg[31]
s_nop 1                                            // 2 wait states required before reading vgpr

/* rC *= alpha batchElements=[(7, 0, 0, 0)] */
v_mul_f32 v[vgprValuC+16], s[sgprAlpha], v[vgprValuC+16] // *= alpha
v_mul_f32 v[vgprValuC+17], s[sgprAlpha], v[vgprValuC+17] // *= alpha
	;; [unrolled: 1-line block ×4, first 2 shown]

/* apply mask, calc new C and issue writes */

/* StoreRemap: shift coord1 address */
s_mul_i32 s54, s[sgprStrideD1J], 32                // scale StrideD *= numRows(16) * bpe
s_add_u32  s[sgprSrdD+0], s[sgprSrdD+0], s54       // incToNextRow: gra SRD += inc(lower)
s_addc_u32  s[sgprSrdD+1], s[sgprSrdD+1], 0        // incToNextRow: gra SRD += inc(upper)
v_mov_b32 v10, 16                                  // set shift rows
_v_add_u32 v5, v5, v10                             // shift storeRemap coord1

s_waitcnt vmcnt(0)                                 // wait C (interleaved) 0 = 1 - 0 + 0 - 1
v_fma_mix_f32 v[vgprValuC+16], s[sgprBeta], v14, v[vgprValuC+16], op_sel:[0,0,0] op_sel_hi:[0,1,0] // //C*=beta
v_fma_mix_f32 v[vgprValuC+17], s[sgprBeta], v14, v[vgprValuC+17], op_sel:[0,1,0] op_sel_hi:[0,1,0] // //C*=beta
	;; [unrolled: 1-line block ×4, first 2 shown]
v_cvt_f16_f32 v[vgprValuC+16], v[vgprValuC+16]     // convert C to fp16
v_cvt_f16_f32 v[vgprValuC+17], v[vgprValuC+17]     // convert C to fp16
v_pack_b32_f16 v16, v[vgprValuC+16], v[vgprValuC+17] // Pack with neighbor
v_cvt_f16_f32 v[vgprValuC+18], v[vgprValuC+18]     // convert C to fp16
v_cvt_f16_f32 v[vgprValuC+19], v[vgprValuC+19]     // convert C to fp16
v_pack_b32_f16 v17, v[vgprValuC+18], v[vgprValuC+19] // Pack with neighbor
_ds_store_b64 v7, v[16:17], offset:0               // storeRemap lw

/* Handle local read and global write */
s_waitcnt lgkmcnt(0)                               // wait for LDS write
s_barrier //wait all lds write finished

_ds_load_b64 v[14:15], v8, offset:0                // storeRemap lr

v_mov_b32 v13, v6                                  // coord1
v_mul_lo_u32 v13, v13, s[sgprStrideD1J]            // coord1 offset =  coord1 * StrideD
_v_add_lshl_u32 v13, v13, v4, 0x1                  // global write D address
s_waitcnt lgkmcnt(0)                               // wait for LDS read
_buffer_store_b64 v[14:15], v13, s[sgprSrdD:sgprSrdD+3], 0, offen, offset:0 // store D

s_barrier //wait all lds read finished
s_nop 0                                            // 1 wait state required when next inst writes vgprs held by previous dwordx4 store inst
/* optSingleColVgpr=1 optSharedColVgpr=0 optSGPRUsage=BufferLoad_Mask optSrdIncForRow=1 */

/******************************************/
/* Global Write Alpha Beta Batch #8 (d1,d0,vc1,vc0) = */
/*    (8,0,0,0:vw4)                       */
/******************************************/

/* calc coords, apply mask, and issue loads (if necessary) */
/* (d1,vc1,d0,vc0)=(8,0,0,0) */
s_mul_i32 s54, s[sgprStrideC1J], 32                // scale StrideC *= numRows(16) * bpe
s_add_u32  s[sgprSrdC+0], s[sgprSrdC+0], s54       // incToNextRow: gra SRD += inc(lower)
s_addc_u32  s[sgprSrdC+1], s[sgprSrdC+1], 0        // incToNextRow: gra SRD += inc(upper)
_buffer_load_b64 v[14:15], v12, s[sgprSrdC:sgprSrdC+3], 0, offen offset:0 // load C for beta calc
v_accvgpr_read_b32 v[vgprValuC+16], acc32 // copy acc to vreg[32]
v_accvgpr_read_b32 v[vgprValuC+17], acc33 // copy acc to vreg[33]
v_accvgpr_read_b32 v[vgprValuC+18], acc34 // copy acc to vreg[34]
v_accvgpr_read_b32 v[vgprValuC+19], acc35 // copy acc to vreg[35]
s_nop 1                                            // 2 wait states required before reading vgpr

/* rC *= alpha batchElements=[(8, 0, 0, 0)] */
v_mul_f32 v[vgprValuC+16], s[sgprAlpha], v[vgprValuC+16] // *= alpha
v_mul_f32 v[vgprValuC+17], s[sgprAlpha], v[vgprValuC+17] // *= alpha
	;; [unrolled: 1-line block ×4, first 2 shown]

/* apply mask, calc new C and issue writes */

/* StoreRemap: shift coord1 address */
s_mul_i32 s54, s[sgprStrideD1J], 32                // scale StrideD *= numRows(16) * bpe
s_add_u32  s[sgprSrdD+0], s[sgprSrdD+0], s54       // incToNextRow: gra SRD += inc(lower)
s_addc_u32  s[sgprSrdD+1], s[sgprSrdD+1], 0        // incToNextRow: gra SRD += inc(upper)
v_mov_b32 v10, 16                                  // set shift rows
_v_add_u32 v5, v5, v10                             // shift storeRemap coord1

s_waitcnt vmcnt(0)                                 // wait C (interleaved) 0 = 1 - 0 + 0 - 1
v_fma_mix_f32 v[vgprValuC+16], s[sgprBeta], v14, v[vgprValuC+16], op_sel:[0,0,0] op_sel_hi:[0,1,0] // //C*=beta
v_fma_mix_f32 v[vgprValuC+17], s[sgprBeta], v14, v[vgprValuC+17], op_sel:[0,1,0] op_sel_hi:[0,1,0] // //C*=beta
	;; [unrolled: 1-line block ×4, first 2 shown]
v_cvt_f16_f32 v[vgprValuC+16], v[vgprValuC+16]     // convert C to fp16
v_cvt_f16_f32 v[vgprValuC+17], v[vgprValuC+17]     // convert C to fp16
v_pack_b32_f16 v16, v[vgprValuC+16], v[vgprValuC+17] // Pack with neighbor
v_cvt_f16_f32 v[vgprValuC+18], v[vgprValuC+18]     // convert C to fp16
v_cvt_f16_f32 v[vgprValuC+19], v[vgprValuC+19]     // convert C to fp16
v_pack_b32_f16 v17, v[vgprValuC+18], v[vgprValuC+19] // Pack with neighbor
_ds_store_b64 v7, v[16:17], offset:0               // storeRemap lw

/* Handle local read and global write */
s_waitcnt lgkmcnt(0)                               // wait for LDS write
s_barrier //wait all lds write finished

_ds_load_b64 v[14:15], v8, offset:0                // storeRemap lr

v_mov_b32 v13, v6                                  // coord1
v_mul_lo_u32 v13, v13, s[sgprStrideD1J]            // coord1 offset =  coord1 * StrideD
_v_add_lshl_u32 v13, v13, v4, 0x1                  // global write D address
s_waitcnt lgkmcnt(0)                               // wait for LDS read
_buffer_store_b64 v[14:15], v13, s[sgprSrdD:sgprSrdD+3], 0, offen, offset:0 // store D

s_barrier //wait all lds read finished
s_nop 0                                            // 1 wait state required when next inst writes vgprs held by previous dwordx4 store inst
s_branch label_GW_End_88                           // jump to end
GW_B1_E1_87:

/* edge=1, allocate 6 sgpr. perBatchTmpS=4 perBatchMaskS=2 perElementMaskS=0 elementsPerBatch=4 */
/* optSingleColVgpr=0 optSharedColVgpr=0 optSGPRUsage=BufferLoad_Edge_Mask optSrdIncForRow=1 */

/******************************************/
/* Global Write Alpha Beta Edge Batch #0 (d1,d0,vc1,vc0) = */
/*    (0,0,0,0:vw1); (0,0,0,1:vw1); (0,0,0,2:vw1); (0,0,0,3:vw1) */
/******************************************/

/* calc coords, apply mask, and issue loads (if necessary) */
/* (d1,vc1,d0,vc0)=(0,0,0,0) */
v_cmp_lt_u32 s[54:55], v0, s[sgprSizeI]            // coord0 < size0
v_cmp_lt_u32 s[58:59], v1, s[sgprSizeJ]            // coord1 < size1
s_and_b64 s[58:59], s[54:55], s[58:59]             // in0 && in1
_v_add_lshl_u32 v9, v2, v0, 0x1                    // scaleToBpe: accumulate d0 lower and *= bpe into Cin addr
v_cndmask_b32 v9, -1, v9, s[58:59]                 // LDC clip if OOB. offset
_buffer_load_d16_b16 v12, v9, s[sgprSrdC:sgprSrdC+3], 0, offen offset:0 // load C for beta calc
_v_add_lshl_u32 v9, v3, v0, 0x1                    // scaleToBpe: accumulate d0 lower and *= bpe into Cin addr
v_cndmask_b32 v9, -1, v9, s[58:59]                 // LDD clip if OOB. offset
/* (d1,vc1,d0,vc0)=(0,0,0,1) */
_v_add_co_u32 v10, vcc, v0, 1                      // coord0.1: coord0 += d0*sg0*VW + vc0
v_cmp_lt_u32 s[54:55], v10, s[sgprSizeI]           // coord0 < size0
v_cmp_lt_u32 s[58:59], v1, s[sgprSizeJ]            // coord1 < size1
s_and_b64 s[58:59], s[54:55], s[58:59]             // in0 && in1
_v_add_lshl_u32 v14, v2, v10, 0x1                  // scaleToBpe: accumulate d0 lower and *= bpe into Cin addr
v_cndmask_b32 v14, -1, v14, s[58:59]               // LDC clip if OOB. offset
_buffer_load_d16_hi_b16 v15, v14, s[sgprSrdC:sgprSrdC+3], 0, offen offset:0 // load C for beta calc
_v_add_lshl_u32 v14, v3, v10, 0x1                  // scaleToBpe: accumulate d0 lower and *= bpe into Cin addr
v_cndmask_b32 v14, -1, v14, s[58:59]               // LDD clip if OOB. offset
/* (d1,vc1,d0,vc0)=(0,0,0,2) */
_v_add_co_u32 v10, vcc, v0, 2                      // coord0.1: coord0 += d0*sg0*VW + vc0
v_cmp_lt_u32 s[54:55], v10, s[sgprSizeI]           // coord0 < size0
v_cmp_lt_u32 s[58:59], v1, s[sgprSizeJ]            // coord1 < size1
s_and_b64 s[58:59], s[54:55], s[58:59]             // in0 && in1
_v_add_lshl_u32 v17, v2, v10, 0x1                  // scaleToBpe: accumulate d0 lower and *= bpe into Cin addr
v_cndmask_b32 v17, -1, v17, s[58:59]               // LDC clip if OOB. offset
_buffer_load_d16_b16 v18, v17, s[sgprSrdC:sgprSrdC+3], 0, offen offset:0 // load C for beta calc
_v_add_lshl_u32 v17, v3, v10, 0x1                  // scaleToBpe: accumulate d0 lower and *= bpe into Cin addr
v_cndmask_b32 v17, -1, v17, s[58:59]               // LDD clip if OOB. offset
/* (d1,vc1,d0,vc0)=(0,0,0,3) */
_v_add_co_u32 v10, vcc, v0, 3                      // coord0.1: coord0 += d0*sg0*VW + vc0
v_cmp_lt_u32 s[54:55], v10, s[sgprSizeI]           // coord0 < size0
v_cmp_lt_u32 s[58:59], v1, s[sgprSizeJ]            // coord1 < size1
s_and_b64 s[58:59], s[54:55], s[58:59]             // in0 && in1
_v_add_lshl_u32 v20, v2, v10, 0x1                  // scaleToBpe: accumulate d0 lower and *= bpe into Cin addr
v_cndmask_b32 v20, -1, v20, s[58:59]               // LDC clip if OOB. offset
_buffer_load_d16_hi_b16 v21, v20, s[sgprSrdC:sgprSrdC+3], 0, offen offset:0 // load C for beta calc
_v_add_lshl_u32 v20, v3, v10, 0x1                  // scaleToBpe: accumulate d0 lower and *= bpe into Cin addr
v_cndmask_b32 v20, -1, v20, s[58:59]               // LDD clip if OOB. offset
v_accvgpr_read_b32 v[vgprValuC+13], acc0 // copy acc to vreg[0]
v_accvgpr_read_b32 v[vgprValuC+16], acc1 // copy acc to vreg[1]
v_accvgpr_read_b32 v[vgprValuC+19], acc2 // copy acc to vreg[2]
v_accvgpr_read_b32 v[vgprValuC+22], acc3 // copy acc to vreg[3]
s_nop 1                                            // 2 wait states required before reading vgpr

/* rC *= alpha batchElements=[(0, 0, 0, 0), (0, 0, 0, 1), (0, 0, 0, 2), (0, 0, 0, 3)] */
v_mul_f32 v[vgprValuC+13], s[sgprAlpha], v[vgprValuC+13] // *= alpha
v_mul_f32 v[vgprValuC+16], s[sgprAlpha], v[vgprValuC+16] // *= alpha
	;; [unrolled: 1-line block ×4, first 2 shown]
s_waitcnt vmcnt(0)                                 // wait C

/* apply mask, calc new C and issue writes */
v_fma_mix_f32 v[vgprValuC+13], s[sgprBeta], v12, v[vgprValuC+13], op_sel:[0,0,0] op_sel_hi:[0,1,0] // //C*=beta
v_cvt_f16_f32 v[vgprValuC+13], v[vgprValuC+13]     // convert C to fp16
_ds_store_b16 v7, v13, offset:0                    // storeRemap lw
v_fma_mix_f32 v[vgprValuC+16], s[sgprBeta], v15, v[vgprValuC+16], op_sel:[0,1,0] op_sel_hi:[0,1,0] // //C*=beta
v_cvt_f16_f32 v[vgprValuC+16], v[vgprValuC+16]     // convert C to fp16
_ds_store_b16 v7, v16, offset:2                    // storeRemap lw
	;; [unrolled: 3-line block ×4, first 2 shown]

/* Handle local read and global write */
s_waitcnt lgkmcnt(0)                               // wait for LDS write
s_barrier //wait all lds write finished

_ds_load_b64 v[12:13], v8, offset:0                // storeRemap lr

s_waitcnt lgkmcnt(0)                               // wait for LDS read
_v_add_u32 v11, v5, 0                              // coord1 += nColPerLoad
_v_add_u32 v10, v4, 0                              // coord0 += element index of load vector
_v_add_u32 v9, v6, 0                               // offset coord1 += nColPerLoad
v_cmp_lt_u32 s[54:55], v10, s[sgprSizeI]           // coord0 < size0
v_cmp_lt_u32 s[56:57], v11, s[sgprSizeJ]           // coord1 < size1
s_and_b64 s[56:57], s[54:55], s[56:57]             // in0 && in1
v_mul_lo_u32 v9, v9, s[sgprStrideD1J]              // coord1 element offset =  coord1 * StrideD
_v_add_lshl_u32 v9, v9, v10, 0x1                   // scale to BPE
v_cndmask_b32 v9, -1, v9, s[56:57]                 // clip if OOB. offset
_buffer_store_b16 v12, v9, s[sgprSrdD:sgprSrdD+3], 0, offen, offset:0 // store D
_v_add_u32 v11, v5, 0                              // coord1 += nColPerLoad
_v_add_u32 v10, v4, 1                              // coord0 += element index of load vector
_v_add_u32 v9, v6, 0                               // offset coord1 += nColPerLoad
v_cmp_lt_u32 s[54:55], v10, s[sgprSizeI]           // coord0 < size0
v_cmp_lt_u32 s[56:57], v11, s[sgprSizeJ]           // coord1 < size1
s_and_b64 s[56:57], s[54:55], s[56:57]             // in0 && in1
v_mul_lo_u32 v9, v9, s[sgprStrideD1J]              // coord1 element offset =  coord1 * StrideD
_v_add_lshl_u32 v9, v9, v10, 0x1                   // scale to BPE
v_cndmask_b32 v9, -1, v9, s[56:57]                 // clip if OOB. offset
_buffer_store_d16_hi_b16 v12, v9, s[sgprSrdD:sgprSrdD+3], 0, offen, offset:0 // store D
_v_add_u32 v11, v5, 0                              // coord1 += nColPerLoad
_v_add_u32 v10, v4, 2                              // coord0 += element index of load vector
_v_add_u32 v9, v6, 0                               // offset coord1 += nColPerLoad
v_cmp_lt_u32 s[54:55], v10, s[sgprSizeI]           // coord0 < size0
v_cmp_lt_u32 s[56:57], v11, s[sgprSizeJ]           // coord1 < size1
s_and_b64 s[56:57], s[54:55], s[56:57]             // in0 && in1
v_mul_lo_u32 v9, v9, s[sgprStrideD1J]              // coord1 element offset =  coord1 * StrideD
_v_add_lshl_u32 v9, v9, v10, 0x1                   // scale to BPE
v_cndmask_b32 v9, -1, v9, s[56:57]                 // clip if OOB. offset
_buffer_store_b16 v13, v9, s[sgprSrdD:sgprSrdD+3], 0, offen, offset:0 // store D
_v_add_u32 v11, v5, 0                              // coord1 += nColPerLoad
_v_add_u32 v10, v4, 3                              // coord0 += element index of load vector
_v_add_u32 v9, v6, 0                               // offset coord1 += nColPerLoad
v_cmp_lt_u32 s[54:55], v10, s[sgprSizeI]           // coord0 < size0
v_cmp_lt_u32 s[56:57], v11, s[sgprSizeJ]           // coord1 < size1
s_and_b64 s[56:57], s[54:55], s[56:57]             // in0 && in1
v_mul_lo_u32 v9, v9, s[sgprStrideD1J]              // coord1 element offset =  coord1 * StrideD
_v_add_lshl_u32 v9, v9, v10, 0x1                   // scale to BPE
v_cndmask_b32 v9, -1, v9, s[56:57]                 // clip if OOB. offset
_buffer_store_d16_hi_b16 v13, v9, s[sgprSrdD:sgprSrdD+3], 0, offen, offset:0 // store D

s_barrier //wait all lds read finished
s_nop 0                                            // 1 wait state required when next inst writes vgprs held by previous dwordx4 store inst
/* optSingleColVgpr=0 optSharedColVgpr=0 optSGPRUsage=BufferLoad_Edge_Mask optSrdIncForRow=1 */

/******************************************/
/* Global Write Alpha Beta Edge Batch #1 (d1,d0,vc1,vc0) = */
/*    (1,0,0,0:vw1); (1,0,0,1:vw1); (1,0,0,2:vw1); (1,0,0,3:vw1) */
/******************************************/

/* calc coords, apply mask, and issue loads (if necessary) */
/* (d1,vc1,d0,vc0)=(1,0,0,0) */
_v_add_co_u32 v1, vcc, v1, 16                      // coord1.1: coord1Vgpr += d1*sg1*VW + vc1
v_cmp_lt_u32 s[54:55], v0, s[sgprSizeI]            // coord0 < size0
v_cmp_lt_u32 s[58:59], v1, s[sgprSizeJ]            // coord1 < size1
s_and_b64 s[58:59], s[54:55], s[58:59]             // in0 && in1
_v_add_lshl_u32 v9, v2, v0, 0x1                    // scaleToBpe: accumulate d0 lower and *= bpe into Cin addr
v_cndmask_b32 v9, -1, v9, s[58:59]                 // LDC clip if OOB. offset
s_mul_i32 s54, s[sgprStrideC1J], 32                // scale StrideC *= numRows(16) * bpe
s_add_u32  s[sgprSrdC+0], s[sgprSrdC+0], s54       // incToNextRow: gra SRD += inc(lower)
s_addc_u32  s[sgprSrdC+1], s[sgprSrdC+1], 0        // incToNextRow: gra SRD += inc(upper)
_buffer_load_d16_b16 v12, v9, s[sgprSrdC:sgprSrdC+3], 0, offen offset:0 // load C for beta calc
_v_add_lshl_u32 v9, v3, v0, 0x1                    // scaleToBpe: accumulate d0 lower and *= bpe into Cin addr
v_cndmask_b32 v9, -1, v9, s[58:59]                 // LDD clip if OOB. offset
/* (d1,vc1,d0,vc0)=(1,0,0,1) */
_v_add_co_u32 v10, vcc, v0, 1                      // coord0.1: coord0 += d0*sg0*VW + vc0
v_cmp_lt_u32 s[54:55], v10, s[sgprSizeI]           // coord0 < size0
v_cmp_lt_u32 s[58:59], v1, s[sgprSizeJ]            // coord1 < size1
s_and_b64 s[58:59], s[54:55], s[58:59]             // in0 && in1
_v_add_lshl_u32 v14, v2, v10, 0x1                  // scaleToBpe: accumulate d0 lower and *= bpe into Cin addr
v_cndmask_b32 v14, -1, v14, s[58:59]               // LDC clip if OOB. offset
_buffer_load_d16_hi_b16 v15, v14, s[sgprSrdC:sgprSrdC+3], 0, offen offset:0 // load C for beta calc
_v_add_lshl_u32 v14, v3, v10, 0x1                  // scaleToBpe: accumulate d0 lower and *= bpe into Cin addr
v_cndmask_b32 v14, -1, v14, s[58:59]               // LDD clip if OOB. offset
/* (d1,vc1,d0,vc0)=(1,0,0,2) */
_v_add_co_u32 v10, vcc, v0, 2                      // coord0.1: coord0 += d0*sg0*VW + vc0
v_cmp_lt_u32 s[54:55], v10, s[sgprSizeI]           // coord0 < size0
v_cmp_lt_u32 s[58:59], v1, s[sgprSizeJ]            // coord1 < size1
s_and_b64 s[58:59], s[54:55], s[58:59]             // in0 && in1
_v_add_lshl_u32 v17, v2, v10, 0x1                  // scaleToBpe: accumulate d0 lower and *= bpe into Cin addr
v_cndmask_b32 v17, -1, v17, s[58:59]               // LDC clip if OOB. offset
_buffer_load_d16_b16 v18, v17, s[sgprSrdC:sgprSrdC+3], 0, offen offset:0 // load C for beta calc
_v_add_lshl_u32 v17, v3, v10, 0x1                  // scaleToBpe: accumulate d0 lower and *= bpe into Cin addr
v_cndmask_b32 v17, -1, v17, s[58:59]               // LDD clip if OOB. offset
/* (d1,vc1,d0,vc0)=(1,0,0,3) */
_v_add_co_u32 v10, vcc, v0, 3                      // coord0.1: coord0 += d0*sg0*VW + vc0
v_cmp_lt_u32 s[54:55], v10, s[sgprSizeI]           // coord0 < size0
v_cmp_lt_u32 s[58:59], v1, s[sgprSizeJ]            // coord1 < size1
s_and_b64 s[58:59], s[54:55], s[58:59]             // in0 && in1
_v_add_lshl_u32 v20, v2, v10, 0x1                  // scaleToBpe: accumulate d0 lower and *= bpe into Cin addr
v_cndmask_b32 v20, -1, v20, s[58:59]               // LDC clip if OOB. offset
_buffer_load_d16_hi_b16 v21, v20, s[sgprSrdC:sgprSrdC+3], 0, offen offset:0 // load C for beta calc
_v_add_lshl_u32 v20, v3, v10, 0x1                  // scaleToBpe: accumulate d0 lower and *= bpe into Cin addr
v_cndmask_b32 v20, -1, v20, s[58:59]               // LDD clip if OOB. offset
v_accvgpr_read_b32 v[vgprValuC+13], acc4 // copy acc to vreg[4]
v_accvgpr_read_b32 v[vgprValuC+16], acc5 // copy acc to vreg[5]
v_accvgpr_read_b32 v[vgprValuC+19], acc6 // copy acc to vreg[6]
v_accvgpr_read_b32 v[vgprValuC+22], acc7 // copy acc to vreg[7]
s_nop 1                                            // 2 wait states required before reading vgpr

/* rC *= alpha batchElements=[(1, 0, 0, 0), (1, 0, 0, 1), (1, 0, 0, 2), (1, 0, 0, 3)] */
v_mul_f32 v[vgprValuC+13], s[sgprAlpha], v[vgprValuC+13] // *= alpha
v_mul_f32 v[vgprValuC+16], s[sgprAlpha], v[vgprValuC+16] // *= alpha
	;; [unrolled: 1-line block ×4, first 2 shown]
s_waitcnt vmcnt(0)                                 // wait C

/* apply mask, calc new C and issue writes */

/* StoreRemap: shift coord1 address */
s_mul_i32 s54, s[sgprStrideD1J], 32                // scale StrideD *= numRows(16) * bpe
s_add_u32  s[sgprSrdD+0], s[sgprSrdD+0], s54       // incToNextRow: gra SRD += inc(lower)
s_addc_u32  s[sgprSrdD+1], s[sgprSrdD+1], 0        // incToNextRow: gra SRD += inc(upper)
v_mov_b32 v10, 16                                  // set shift rows
_v_add_u32 v5, v5, v10                             // shift storeRemap coord1
v_fma_mix_f32 v[vgprValuC+13], s[sgprBeta], v12, v[vgprValuC+13], op_sel:[0,0,0] op_sel_hi:[0,1,0] // //C*=beta
v_cvt_f16_f32 v[vgprValuC+13], v[vgprValuC+13]     // convert C to fp16
_ds_store_b16 v7, v13, offset:0                    // storeRemap lw
v_fma_mix_f32 v[vgprValuC+16], s[sgprBeta], v15, v[vgprValuC+16], op_sel:[0,1,0] op_sel_hi:[0,1,0] // //C*=beta
v_cvt_f16_f32 v[vgprValuC+16], v[vgprValuC+16]     // convert C to fp16
_ds_store_b16 v7, v16, offset:2                    // storeRemap lw
	;; [unrolled: 3-line block ×4, first 2 shown]

/* Handle local read and global write */
s_waitcnt lgkmcnt(0)                               // wait for LDS write
s_barrier //wait all lds write finished

_ds_load_b64 v[12:13], v8, offset:0                // storeRemap lr

s_waitcnt lgkmcnt(0)                               // wait for LDS read
_v_add_u32 v11, v5, 0                              // coord1 += nColPerLoad
_v_add_u32 v10, v4, 0                              // coord0 += element index of load vector
_v_add_u32 v9, v6, 0                               // offset coord1 += nColPerLoad
v_cmp_lt_u32 s[54:55], v10, s[sgprSizeI]           // coord0 < size0
v_cmp_lt_u32 s[56:57], v11, s[sgprSizeJ]           // coord1 < size1
s_and_b64 s[56:57], s[54:55], s[56:57]             // in0 && in1
v_mul_lo_u32 v9, v9, s[sgprStrideD1J]              // coord1 element offset =  coord1 * StrideD
_v_add_lshl_u32 v9, v9, v10, 0x1                   // scale to BPE
v_cndmask_b32 v9, -1, v9, s[56:57]                 // clip if OOB. offset
_buffer_store_b16 v12, v9, s[sgprSrdD:sgprSrdD+3], 0, offen, offset:0 // store D
_v_add_u32 v11, v5, 0                              // coord1 += nColPerLoad
_v_add_u32 v10, v4, 1                              // coord0 += element index of load vector
_v_add_u32 v9, v6, 0                               // offset coord1 += nColPerLoad
v_cmp_lt_u32 s[54:55], v10, s[sgprSizeI]           // coord0 < size0
v_cmp_lt_u32 s[56:57], v11, s[sgprSizeJ]           // coord1 < size1
s_and_b64 s[56:57], s[54:55], s[56:57]             // in0 && in1
v_mul_lo_u32 v9, v9, s[sgprStrideD1J]              // coord1 element offset =  coord1 * StrideD
_v_add_lshl_u32 v9, v9, v10, 0x1                   // scale to BPE
v_cndmask_b32 v9, -1, v9, s[56:57]                 // clip if OOB. offset
_buffer_store_d16_hi_b16 v12, v9, s[sgprSrdD:sgprSrdD+3], 0, offen, offset:0 // store D
_v_add_u32 v11, v5, 0                              // coord1 += nColPerLoad
_v_add_u32 v10, v4, 2                              // coord0 += element index of load vector
_v_add_u32 v9, v6, 0                               // offset coord1 += nColPerLoad
v_cmp_lt_u32 s[54:55], v10, s[sgprSizeI]           // coord0 < size0
v_cmp_lt_u32 s[56:57], v11, s[sgprSizeJ]           // coord1 < size1
s_and_b64 s[56:57], s[54:55], s[56:57]             // in0 && in1
v_mul_lo_u32 v9, v9, s[sgprStrideD1J]              // coord1 element offset =  coord1 * StrideD
_v_add_lshl_u32 v9, v9, v10, 0x1                   // scale to BPE
v_cndmask_b32 v9, -1, v9, s[56:57]                 // clip if OOB. offset
_buffer_store_b16 v13, v9, s[sgprSrdD:sgprSrdD+3], 0, offen, offset:0 // store D
_v_add_u32 v11, v5, 0                              // coord1 += nColPerLoad
_v_add_u32 v10, v4, 3                              // coord0 += element index of load vector
_v_add_u32 v9, v6, 0                               // offset coord1 += nColPerLoad
v_cmp_lt_u32 s[54:55], v10, s[sgprSizeI]           // coord0 < size0
v_cmp_lt_u32 s[56:57], v11, s[sgprSizeJ]           // coord1 < size1
s_and_b64 s[56:57], s[54:55], s[56:57]             // in0 && in1
v_mul_lo_u32 v9, v9, s[sgprStrideD1J]              // coord1 element offset =  coord1 * StrideD
_v_add_lshl_u32 v9, v9, v10, 0x1                   // scale to BPE
v_cndmask_b32 v9, -1, v9, s[56:57]                 // clip if OOB. offset
_buffer_store_d16_hi_b16 v13, v9, s[sgprSrdD:sgprSrdD+3], 0, offen, offset:0 // store D

s_barrier //wait all lds read finished
s_nop 0                                            // 1 wait state required when next inst writes vgprs held by previous dwordx4 store inst
/* optSingleColVgpr=0 optSharedColVgpr=0 optSGPRUsage=BufferLoad_Edge_Mask optSrdIncForRow=1 */

/******************************************/
/* Global Write Alpha Beta Edge Batch #2 (d1,d0,vc1,vc0) = */
/*    (2,0,0,0:vw1); (2,0,0,1:vw1); (2,0,0,2:vw1); (2,0,0,3:vw1) */
/******************************************/

/* calc coords, apply mask, and issue loads (if necessary) */
/* (d1,vc1,d0,vc0)=(2,0,0,0) */
_v_add_co_u32 v1, vcc, v1, 16                      // coord1.1: coord1Vgpr += d1*sg1*VW + vc1
v_cmp_lt_u32 s[54:55], v0, s[sgprSizeI]            // coord0 < size0
v_cmp_lt_u32 s[58:59], v1, s[sgprSizeJ]            // coord1 < size1
s_and_b64 s[58:59], s[54:55], s[58:59]             // in0 && in1
_v_add_lshl_u32 v9, v2, v0, 0x1                    // scaleToBpe: accumulate d0 lower and *= bpe into Cin addr
v_cndmask_b32 v9, -1, v9, s[58:59]                 // LDC clip if OOB. offset
s_mul_i32 s54, s[sgprStrideC1J], 32                // scale StrideC *= numRows(16) * bpe
s_add_u32  s[sgprSrdC+0], s[sgprSrdC+0], s54       // incToNextRow: gra SRD += inc(lower)
s_addc_u32  s[sgprSrdC+1], s[sgprSrdC+1], 0        // incToNextRow: gra SRD += inc(upper)
_buffer_load_d16_b16 v12, v9, s[sgprSrdC:sgprSrdC+3], 0, offen offset:0 // load C for beta calc
_v_add_lshl_u32 v9, v3, v0, 0x1                    // scaleToBpe: accumulate d0 lower and *= bpe into Cin addr
v_cndmask_b32 v9, -1, v9, s[58:59]                 // LDD clip if OOB. offset
/* (d1,vc1,d0,vc0)=(2,0,0,1) */
_v_add_co_u32 v10, vcc, v0, 1                      // coord0.1: coord0 += d0*sg0*VW + vc0
v_cmp_lt_u32 s[54:55], v10, s[sgprSizeI]           // coord0 < size0
v_cmp_lt_u32 s[58:59], v1, s[sgprSizeJ]            // coord1 < size1
s_and_b64 s[58:59], s[54:55], s[58:59]             // in0 && in1
_v_add_lshl_u32 v14, v2, v10, 0x1                  // scaleToBpe: accumulate d0 lower and *= bpe into Cin addr
v_cndmask_b32 v14, -1, v14, s[58:59]               // LDC clip if OOB. offset
_buffer_load_d16_hi_b16 v15, v14, s[sgprSrdC:sgprSrdC+3], 0, offen offset:0 // load C for beta calc
_v_add_lshl_u32 v14, v3, v10, 0x1                  // scaleToBpe: accumulate d0 lower and *= bpe into Cin addr
v_cndmask_b32 v14, -1, v14, s[58:59]               // LDD clip if OOB. offset
/* (d1,vc1,d0,vc0)=(2,0,0,2) */
_v_add_co_u32 v10, vcc, v0, 2                      // coord0.1: coord0 += d0*sg0*VW + vc0
v_cmp_lt_u32 s[54:55], v10, s[sgprSizeI]           // coord0 < size0
v_cmp_lt_u32 s[58:59], v1, s[sgprSizeJ]            // coord1 < size1
s_and_b64 s[58:59], s[54:55], s[58:59]             // in0 && in1
_v_add_lshl_u32 v17, v2, v10, 0x1                  // scaleToBpe: accumulate d0 lower and *= bpe into Cin addr
v_cndmask_b32 v17, -1, v17, s[58:59]               // LDC clip if OOB. offset
_buffer_load_d16_b16 v18, v17, s[sgprSrdC:sgprSrdC+3], 0, offen offset:0 // load C for beta calc
_v_add_lshl_u32 v17, v3, v10, 0x1                  // scaleToBpe: accumulate d0 lower and *= bpe into Cin addr
v_cndmask_b32 v17, -1, v17, s[58:59]               // LDD clip if OOB. offset
/* (d1,vc1,d0,vc0)=(2,0,0,3) */
_v_add_co_u32 v10, vcc, v0, 3                      // coord0.1: coord0 += d0*sg0*VW + vc0
v_cmp_lt_u32 s[54:55], v10, s[sgprSizeI]           // coord0 < size0
v_cmp_lt_u32 s[58:59], v1, s[sgprSizeJ]            // coord1 < size1
s_and_b64 s[58:59], s[54:55], s[58:59]             // in0 && in1
_v_add_lshl_u32 v20, v2, v10, 0x1                  // scaleToBpe: accumulate d0 lower and *= bpe into Cin addr
v_cndmask_b32 v20, -1, v20, s[58:59]               // LDC clip if OOB. offset
_buffer_load_d16_hi_b16 v21, v20, s[sgprSrdC:sgprSrdC+3], 0, offen offset:0 // load C for beta calc
_v_add_lshl_u32 v20, v3, v10, 0x1                  // scaleToBpe: accumulate d0 lower and *= bpe into Cin addr
v_cndmask_b32 v20, -1, v20, s[58:59]               // LDD clip if OOB. offset
v_accvgpr_read_b32 v[vgprValuC+13], acc8 // copy acc to vreg[8]
v_accvgpr_read_b32 v[vgprValuC+16], acc9 // copy acc to vreg[9]
v_accvgpr_read_b32 v[vgprValuC+19], acc10 // copy acc to vreg[10]
v_accvgpr_read_b32 v[vgprValuC+22], acc11 // copy acc to vreg[11]
s_nop 1                                            // 2 wait states required before reading vgpr

/* rC *= alpha batchElements=[(2, 0, 0, 0), (2, 0, 0, 1), (2, 0, 0, 2), (2, 0, 0, 3)] */
v_mul_f32 v[vgprValuC+13], s[sgprAlpha], v[vgprValuC+13] // *= alpha
v_mul_f32 v[vgprValuC+16], s[sgprAlpha], v[vgprValuC+16] // *= alpha
	;; [unrolled: 1-line block ×4, first 2 shown]
s_waitcnt vmcnt(0)                                 // wait C

/* apply mask, calc new C and issue writes */

/* StoreRemap: shift coord1 address */
s_mul_i32 s54, s[sgprStrideD1J], 32                // scale StrideD *= numRows(16) * bpe
s_add_u32  s[sgprSrdD+0], s[sgprSrdD+0], s54       // incToNextRow: gra SRD += inc(lower)
s_addc_u32  s[sgprSrdD+1], s[sgprSrdD+1], 0        // incToNextRow: gra SRD += inc(upper)
v_mov_b32 v10, 16                                  // set shift rows
_v_add_u32 v5, v5, v10                             // shift storeRemap coord1
v_fma_mix_f32 v[vgprValuC+13], s[sgprBeta], v12, v[vgprValuC+13], op_sel:[0,0,0] op_sel_hi:[0,1,0] // //C*=beta
v_cvt_f16_f32 v[vgprValuC+13], v[vgprValuC+13]     // convert C to fp16
_ds_store_b16 v7, v13, offset:0                    // storeRemap lw
v_fma_mix_f32 v[vgprValuC+16], s[sgprBeta], v15, v[vgprValuC+16], op_sel:[0,1,0] op_sel_hi:[0,1,0] // //C*=beta
v_cvt_f16_f32 v[vgprValuC+16], v[vgprValuC+16]     // convert C to fp16
_ds_store_b16 v7, v16, offset:2                    // storeRemap lw
	;; [unrolled: 3-line block ×4, first 2 shown]

/* Handle local read and global write */
s_waitcnt lgkmcnt(0)                               // wait for LDS write
s_barrier //wait all lds write finished

_ds_load_b64 v[12:13], v8, offset:0                // storeRemap lr

s_waitcnt lgkmcnt(0)                               // wait for LDS read
_v_add_u32 v11, v5, 0                              // coord1 += nColPerLoad
_v_add_u32 v10, v4, 0                              // coord0 += element index of load vector
_v_add_u32 v9, v6, 0                               // offset coord1 += nColPerLoad
v_cmp_lt_u32 s[54:55], v10, s[sgprSizeI]           // coord0 < size0
v_cmp_lt_u32 s[56:57], v11, s[sgprSizeJ]           // coord1 < size1
s_and_b64 s[56:57], s[54:55], s[56:57]             // in0 && in1
v_mul_lo_u32 v9, v9, s[sgprStrideD1J]              // coord1 element offset =  coord1 * StrideD
_v_add_lshl_u32 v9, v9, v10, 0x1                   // scale to BPE
v_cndmask_b32 v9, -1, v9, s[56:57]                 // clip if OOB. offset
_buffer_store_b16 v12, v9, s[sgprSrdD:sgprSrdD+3], 0, offen, offset:0 // store D
_v_add_u32 v11, v5, 0                              // coord1 += nColPerLoad
_v_add_u32 v10, v4, 1                              // coord0 += element index of load vector
_v_add_u32 v9, v6, 0                               // offset coord1 += nColPerLoad
v_cmp_lt_u32 s[54:55], v10, s[sgprSizeI]           // coord0 < size0
v_cmp_lt_u32 s[56:57], v11, s[sgprSizeJ]           // coord1 < size1
s_and_b64 s[56:57], s[54:55], s[56:57]             // in0 && in1
v_mul_lo_u32 v9, v9, s[sgprStrideD1J]              // coord1 element offset =  coord1 * StrideD
_v_add_lshl_u32 v9, v9, v10, 0x1                   // scale to BPE
v_cndmask_b32 v9, -1, v9, s[56:57]                 // clip if OOB. offset
_buffer_store_d16_hi_b16 v12, v9, s[sgprSrdD:sgprSrdD+3], 0, offen, offset:0 // store D
_v_add_u32 v11, v5, 0                              // coord1 += nColPerLoad
_v_add_u32 v10, v4, 2                              // coord0 += element index of load vector
_v_add_u32 v9, v6, 0                               // offset coord1 += nColPerLoad
v_cmp_lt_u32 s[54:55], v10, s[sgprSizeI]           // coord0 < size0
v_cmp_lt_u32 s[56:57], v11, s[sgprSizeJ]           // coord1 < size1
s_and_b64 s[56:57], s[54:55], s[56:57]             // in0 && in1
v_mul_lo_u32 v9, v9, s[sgprStrideD1J]              // coord1 element offset =  coord1 * StrideD
_v_add_lshl_u32 v9, v9, v10, 0x1                   // scale to BPE
v_cndmask_b32 v9, -1, v9, s[56:57]                 // clip if OOB. offset
_buffer_store_b16 v13, v9, s[sgprSrdD:sgprSrdD+3], 0, offen, offset:0 // store D
_v_add_u32 v11, v5, 0                              // coord1 += nColPerLoad
_v_add_u32 v10, v4, 3                              // coord0 += element index of load vector
_v_add_u32 v9, v6, 0                               // offset coord1 += nColPerLoad
v_cmp_lt_u32 s[54:55], v10, s[sgprSizeI]           // coord0 < size0
v_cmp_lt_u32 s[56:57], v11, s[sgprSizeJ]           // coord1 < size1
s_and_b64 s[56:57], s[54:55], s[56:57]             // in0 && in1
v_mul_lo_u32 v9, v9, s[sgprStrideD1J]              // coord1 element offset =  coord1 * StrideD
_v_add_lshl_u32 v9, v9, v10, 0x1                   // scale to BPE
v_cndmask_b32 v9, -1, v9, s[56:57]                 // clip if OOB. offset
_buffer_store_d16_hi_b16 v13, v9, s[sgprSrdD:sgprSrdD+3], 0, offen, offset:0 // store D

s_barrier //wait all lds read finished
s_nop 0                                            // 1 wait state required when next inst writes vgprs held by previous dwordx4 store inst
/* optSingleColVgpr=0 optSharedColVgpr=0 optSGPRUsage=BufferLoad_Edge_Mask optSrdIncForRow=1 */

/******************************************/
/* Global Write Alpha Beta Edge Batch #3 (d1,d0,vc1,vc0) = */
/*    (3,0,0,0:vw1); (3,0,0,1:vw1); (3,0,0,2:vw1); (3,0,0,3:vw1) */
/******************************************/

/* calc coords, apply mask, and issue loads (if necessary) */
/* (d1,vc1,d0,vc0)=(3,0,0,0) */
_v_add_co_u32 v1, vcc, v1, 16                      // coord1.1: coord1Vgpr += d1*sg1*VW + vc1
v_cmp_lt_u32 s[54:55], v0, s[sgprSizeI]            // coord0 < size0
v_cmp_lt_u32 s[58:59], v1, s[sgprSizeJ]            // coord1 < size1
s_and_b64 s[58:59], s[54:55], s[58:59]             // in0 && in1
_v_add_lshl_u32 v9, v2, v0, 0x1                    // scaleToBpe: accumulate d0 lower and *= bpe into Cin addr
v_cndmask_b32 v9, -1, v9, s[58:59]                 // LDC clip if OOB. offset
s_mul_i32 s54, s[sgprStrideC1J], 32                // scale StrideC *= numRows(16) * bpe
s_add_u32  s[sgprSrdC+0], s[sgprSrdC+0], s54       // incToNextRow: gra SRD += inc(lower)
s_addc_u32  s[sgprSrdC+1], s[sgprSrdC+1], 0        // incToNextRow: gra SRD += inc(upper)
_buffer_load_d16_b16 v12, v9, s[sgprSrdC:sgprSrdC+3], 0, offen offset:0 // load C for beta calc
_v_add_lshl_u32 v9, v3, v0, 0x1                    // scaleToBpe: accumulate d0 lower and *= bpe into Cin addr
v_cndmask_b32 v9, -1, v9, s[58:59]                 // LDD clip if OOB. offset
/* (d1,vc1,d0,vc0)=(3,0,0,1) */
_v_add_co_u32 v10, vcc, v0, 1                      // coord0.1: coord0 += d0*sg0*VW + vc0
v_cmp_lt_u32 s[54:55], v10, s[sgprSizeI]           // coord0 < size0
v_cmp_lt_u32 s[58:59], v1, s[sgprSizeJ]            // coord1 < size1
s_and_b64 s[58:59], s[54:55], s[58:59]             // in0 && in1
_v_add_lshl_u32 v14, v2, v10, 0x1                  // scaleToBpe: accumulate d0 lower and *= bpe into Cin addr
v_cndmask_b32 v14, -1, v14, s[58:59]               // LDC clip if OOB. offset
_buffer_load_d16_hi_b16 v15, v14, s[sgprSrdC:sgprSrdC+3], 0, offen offset:0 // load C for beta calc
_v_add_lshl_u32 v14, v3, v10, 0x1                  // scaleToBpe: accumulate d0 lower and *= bpe into Cin addr
v_cndmask_b32 v14, -1, v14, s[58:59]               // LDD clip if OOB. offset
/* (d1,vc1,d0,vc0)=(3,0,0,2) */
_v_add_co_u32 v10, vcc, v0, 2                      // coord0.1: coord0 += d0*sg0*VW + vc0
v_cmp_lt_u32 s[54:55], v10, s[sgprSizeI]           // coord0 < size0
v_cmp_lt_u32 s[58:59], v1, s[sgprSizeJ]            // coord1 < size1
s_and_b64 s[58:59], s[54:55], s[58:59]             // in0 && in1
_v_add_lshl_u32 v17, v2, v10, 0x1                  // scaleToBpe: accumulate d0 lower and *= bpe into Cin addr
v_cndmask_b32 v17, -1, v17, s[58:59]               // LDC clip if OOB. offset
_buffer_load_d16_b16 v18, v17, s[sgprSrdC:sgprSrdC+3], 0, offen offset:0 // load C for beta calc
_v_add_lshl_u32 v17, v3, v10, 0x1                  // scaleToBpe: accumulate d0 lower and *= bpe into Cin addr
v_cndmask_b32 v17, -1, v17, s[58:59]               // LDD clip if OOB. offset
/* (d1,vc1,d0,vc0)=(3,0,0,3) */
_v_add_co_u32 v10, vcc, v0, 3                      // coord0.1: coord0 += d0*sg0*VW + vc0
v_cmp_lt_u32 s[54:55], v10, s[sgprSizeI]           // coord0 < size0
v_cmp_lt_u32 s[58:59], v1, s[sgprSizeJ]            // coord1 < size1
s_and_b64 s[58:59], s[54:55], s[58:59]             // in0 && in1
_v_add_lshl_u32 v20, v2, v10, 0x1                  // scaleToBpe: accumulate d0 lower and *= bpe into Cin addr
v_cndmask_b32 v20, -1, v20, s[58:59]               // LDC clip if OOB. offset
_buffer_load_d16_hi_b16 v21, v20, s[sgprSrdC:sgprSrdC+3], 0, offen offset:0 // load C for beta calc
_v_add_lshl_u32 v20, v3, v10, 0x1                  // scaleToBpe: accumulate d0 lower and *= bpe into Cin addr
v_cndmask_b32 v20, -1, v20, s[58:59]               // LDD clip if OOB. offset
v_accvgpr_read_b32 v[vgprValuC+13], acc12 // copy acc to vreg[12]
v_accvgpr_read_b32 v[vgprValuC+16], acc13 // copy acc to vreg[13]
v_accvgpr_read_b32 v[vgprValuC+19], acc14 // copy acc to vreg[14]
v_accvgpr_read_b32 v[vgprValuC+22], acc15 // copy acc to vreg[15]
s_nop 1                                            // 2 wait states required before reading vgpr

/* rC *= alpha batchElements=[(3, 0, 0, 0), (3, 0, 0, 1), (3, 0, 0, 2), (3, 0, 0, 3)] */
v_mul_f32 v[vgprValuC+13], s[sgprAlpha], v[vgprValuC+13] // *= alpha
v_mul_f32 v[vgprValuC+16], s[sgprAlpha], v[vgprValuC+16] // *= alpha
	;; [unrolled: 1-line block ×4, first 2 shown]
s_waitcnt vmcnt(0)                                 // wait C

/* apply mask, calc new C and issue writes */

/* StoreRemap: shift coord1 address */
s_mul_i32 s54, s[sgprStrideD1J], 32                // scale StrideD *= numRows(16) * bpe
s_add_u32  s[sgprSrdD+0], s[sgprSrdD+0], s54       // incToNextRow: gra SRD += inc(lower)
s_addc_u32  s[sgprSrdD+1], s[sgprSrdD+1], 0        // incToNextRow: gra SRD += inc(upper)
v_mov_b32 v10, 16                                  // set shift rows
_v_add_u32 v5, v5, v10                             // shift storeRemap coord1
v_fma_mix_f32 v[vgprValuC+13], s[sgprBeta], v12, v[vgprValuC+13], op_sel:[0,0,0] op_sel_hi:[0,1,0] // //C*=beta
v_cvt_f16_f32 v[vgprValuC+13], v[vgprValuC+13]     // convert C to fp16
_ds_store_b16 v7, v13, offset:0                    // storeRemap lw
v_fma_mix_f32 v[vgprValuC+16], s[sgprBeta], v15, v[vgprValuC+16], op_sel:[0,1,0] op_sel_hi:[0,1,0] // //C*=beta
v_cvt_f16_f32 v[vgprValuC+16], v[vgprValuC+16]     // convert C to fp16
_ds_store_b16 v7, v16, offset:2                    // storeRemap lw
	;; [unrolled: 3-line block ×4, first 2 shown]

/* Handle local read and global write */
s_waitcnt lgkmcnt(0)                               // wait for LDS write
s_barrier //wait all lds write finished

_ds_load_b64 v[12:13], v8, offset:0                // storeRemap lr

s_waitcnt lgkmcnt(0)                               // wait for LDS read
_v_add_u32 v11, v5, 0                              // coord1 += nColPerLoad
_v_add_u32 v10, v4, 0                              // coord0 += element index of load vector
_v_add_u32 v9, v6, 0                               // offset coord1 += nColPerLoad
v_cmp_lt_u32 s[54:55], v10, s[sgprSizeI]           // coord0 < size0
v_cmp_lt_u32 s[56:57], v11, s[sgprSizeJ]           // coord1 < size1
s_and_b64 s[56:57], s[54:55], s[56:57]             // in0 && in1
v_mul_lo_u32 v9, v9, s[sgprStrideD1J]              // coord1 element offset =  coord1 * StrideD
_v_add_lshl_u32 v9, v9, v10, 0x1                   // scale to BPE
v_cndmask_b32 v9, -1, v9, s[56:57]                 // clip if OOB. offset
_buffer_store_b16 v12, v9, s[sgprSrdD:sgprSrdD+3], 0, offen, offset:0 // store D
_v_add_u32 v11, v5, 0                              // coord1 += nColPerLoad
_v_add_u32 v10, v4, 1                              // coord0 += element index of load vector
_v_add_u32 v9, v6, 0                               // offset coord1 += nColPerLoad
v_cmp_lt_u32 s[54:55], v10, s[sgprSizeI]           // coord0 < size0
v_cmp_lt_u32 s[56:57], v11, s[sgprSizeJ]           // coord1 < size1
s_and_b64 s[56:57], s[54:55], s[56:57]             // in0 && in1
v_mul_lo_u32 v9, v9, s[sgprStrideD1J]              // coord1 element offset =  coord1 * StrideD
_v_add_lshl_u32 v9, v9, v10, 0x1                   // scale to BPE
v_cndmask_b32 v9, -1, v9, s[56:57]                 // clip if OOB. offset
_buffer_store_d16_hi_b16 v12, v9, s[sgprSrdD:sgprSrdD+3], 0, offen, offset:0 // store D
_v_add_u32 v11, v5, 0                              // coord1 += nColPerLoad
_v_add_u32 v10, v4, 2                              // coord0 += element index of load vector
_v_add_u32 v9, v6, 0                               // offset coord1 += nColPerLoad
v_cmp_lt_u32 s[54:55], v10, s[sgprSizeI]           // coord0 < size0
v_cmp_lt_u32 s[56:57], v11, s[sgprSizeJ]           // coord1 < size1
s_and_b64 s[56:57], s[54:55], s[56:57]             // in0 && in1
v_mul_lo_u32 v9, v9, s[sgprStrideD1J]              // coord1 element offset =  coord1 * StrideD
_v_add_lshl_u32 v9, v9, v10, 0x1                   // scale to BPE
v_cndmask_b32 v9, -1, v9, s[56:57]                 // clip if OOB. offset
_buffer_store_b16 v13, v9, s[sgprSrdD:sgprSrdD+3], 0, offen, offset:0 // store D
_v_add_u32 v11, v5, 0                              // coord1 += nColPerLoad
_v_add_u32 v10, v4, 3                              // coord0 += element index of load vector
_v_add_u32 v9, v6, 0                               // offset coord1 += nColPerLoad
v_cmp_lt_u32 s[54:55], v10, s[sgprSizeI]           // coord0 < size0
v_cmp_lt_u32 s[56:57], v11, s[sgprSizeJ]           // coord1 < size1
s_and_b64 s[56:57], s[54:55], s[56:57]             // in0 && in1
v_mul_lo_u32 v9, v9, s[sgprStrideD1J]              // coord1 element offset =  coord1 * StrideD
_v_add_lshl_u32 v9, v9, v10, 0x1                   // scale to BPE
v_cndmask_b32 v9, -1, v9, s[56:57]                 // clip if OOB. offset
_buffer_store_d16_hi_b16 v13, v9, s[sgprSrdD:sgprSrdD+3], 0, offen, offset:0 // store D

s_barrier //wait all lds read finished
s_nop 0                                            // 1 wait state required when next inst writes vgprs held by previous dwordx4 store inst
/* optSingleColVgpr=0 optSharedColVgpr=0 optSGPRUsage=BufferLoad_Edge_Mask optSrdIncForRow=1 */

/******************************************/
/* Global Write Alpha Beta Edge Batch #4 (d1,d0,vc1,vc0) = */
/*    (4,0,0,0:vw1); (4,0,0,1:vw1); (4,0,0,2:vw1); (4,0,0,3:vw1) */
/******************************************/

/* calc coords, apply mask, and issue loads (if necessary) */
/* (d1,vc1,d0,vc0)=(4,0,0,0) */
_v_add_co_u32 v1, vcc, v1, 16                      // coord1.1: coord1Vgpr += d1*sg1*VW + vc1
v_cmp_lt_u32 s[54:55], v0, s[sgprSizeI]            // coord0 < size0
v_cmp_lt_u32 s[58:59], v1, s[sgprSizeJ]            // coord1 < size1
s_and_b64 s[58:59], s[54:55], s[58:59]             // in0 && in1
_v_add_lshl_u32 v9, v2, v0, 0x1                    // scaleToBpe: accumulate d0 lower and *= bpe into Cin addr
v_cndmask_b32 v9, -1, v9, s[58:59]                 // LDC clip if OOB. offset
s_mul_i32 s54, s[sgprStrideC1J], 32                // scale StrideC *= numRows(16) * bpe
s_add_u32  s[sgprSrdC+0], s[sgprSrdC+0], s54       // incToNextRow: gra SRD += inc(lower)
s_addc_u32  s[sgprSrdC+1], s[sgprSrdC+1], 0        // incToNextRow: gra SRD += inc(upper)
_buffer_load_d16_b16 v12, v9, s[sgprSrdC:sgprSrdC+3], 0, offen offset:0 // load C for beta calc
_v_add_lshl_u32 v9, v3, v0, 0x1                    // scaleToBpe: accumulate d0 lower and *= bpe into Cin addr
v_cndmask_b32 v9, -1, v9, s[58:59]                 // LDD clip if OOB. offset
/* (d1,vc1,d0,vc0)=(4,0,0,1) */
_v_add_co_u32 v10, vcc, v0, 1                      // coord0.1: coord0 += d0*sg0*VW + vc0
v_cmp_lt_u32 s[54:55], v10, s[sgprSizeI]           // coord0 < size0
v_cmp_lt_u32 s[58:59], v1, s[sgprSizeJ]            // coord1 < size1
s_and_b64 s[58:59], s[54:55], s[58:59]             // in0 && in1
_v_add_lshl_u32 v14, v2, v10, 0x1                  // scaleToBpe: accumulate d0 lower and *= bpe into Cin addr
v_cndmask_b32 v14, -1, v14, s[58:59]               // LDC clip if OOB. offset
_buffer_load_d16_hi_b16 v15, v14, s[sgprSrdC:sgprSrdC+3], 0, offen offset:0 // load C for beta calc
_v_add_lshl_u32 v14, v3, v10, 0x1                  // scaleToBpe: accumulate d0 lower and *= bpe into Cin addr
v_cndmask_b32 v14, -1, v14, s[58:59]               // LDD clip if OOB. offset
/* (d1,vc1,d0,vc0)=(4,0,0,2) */
_v_add_co_u32 v10, vcc, v0, 2                      // coord0.1: coord0 += d0*sg0*VW + vc0
v_cmp_lt_u32 s[54:55], v10, s[sgprSizeI]           // coord0 < size0
v_cmp_lt_u32 s[58:59], v1, s[sgprSizeJ]            // coord1 < size1
s_and_b64 s[58:59], s[54:55], s[58:59]             // in0 && in1
_v_add_lshl_u32 v17, v2, v10, 0x1                  // scaleToBpe: accumulate d0 lower and *= bpe into Cin addr
v_cndmask_b32 v17, -1, v17, s[58:59]               // LDC clip if OOB. offset
_buffer_load_d16_b16 v18, v17, s[sgprSrdC:sgprSrdC+3], 0, offen offset:0 // load C for beta calc
_v_add_lshl_u32 v17, v3, v10, 0x1                  // scaleToBpe: accumulate d0 lower and *= bpe into Cin addr
v_cndmask_b32 v17, -1, v17, s[58:59]               // LDD clip if OOB. offset
/* (d1,vc1,d0,vc0)=(4,0,0,3) */
_v_add_co_u32 v10, vcc, v0, 3                      // coord0.1: coord0 += d0*sg0*VW + vc0
v_cmp_lt_u32 s[54:55], v10, s[sgprSizeI]           // coord0 < size0
v_cmp_lt_u32 s[58:59], v1, s[sgprSizeJ]            // coord1 < size1
s_and_b64 s[58:59], s[54:55], s[58:59]             // in0 && in1
_v_add_lshl_u32 v20, v2, v10, 0x1                  // scaleToBpe: accumulate d0 lower and *= bpe into Cin addr
v_cndmask_b32 v20, -1, v20, s[58:59]               // LDC clip if OOB. offset
_buffer_load_d16_hi_b16 v21, v20, s[sgprSrdC:sgprSrdC+3], 0, offen offset:0 // load C for beta calc
_v_add_lshl_u32 v20, v3, v10, 0x1                  // scaleToBpe: accumulate d0 lower and *= bpe into Cin addr
v_cndmask_b32 v20, -1, v20, s[58:59]               // LDD clip if OOB. offset
v_accvgpr_read_b32 v[vgprValuC+13], acc16 // copy acc to vreg[16]
v_accvgpr_read_b32 v[vgprValuC+16], acc17 // copy acc to vreg[17]
v_accvgpr_read_b32 v[vgprValuC+19], acc18 // copy acc to vreg[18]
v_accvgpr_read_b32 v[vgprValuC+22], acc19 // copy acc to vreg[19]
s_nop 1                                            // 2 wait states required before reading vgpr

/* rC *= alpha batchElements=[(4, 0, 0, 0), (4, 0, 0, 1), (4, 0, 0, 2), (4, 0, 0, 3)] */
v_mul_f32 v[vgprValuC+13], s[sgprAlpha], v[vgprValuC+13] // *= alpha
v_mul_f32 v[vgprValuC+16], s[sgprAlpha], v[vgprValuC+16] // *= alpha
	;; [unrolled: 1-line block ×4, first 2 shown]
s_waitcnt vmcnt(0)                                 // wait C

/* apply mask, calc new C and issue writes */

/* StoreRemap: shift coord1 address */
s_mul_i32 s54, s[sgprStrideD1J], 32                // scale StrideD *= numRows(16) * bpe
s_add_u32  s[sgprSrdD+0], s[sgprSrdD+0], s54       // incToNextRow: gra SRD += inc(lower)
s_addc_u32  s[sgprSrdD+1], s[sgprSrdD+1], 0        // incToNextRow: gra SRD += inc(upper)
v_mov_b32 v10, 16                                  // set shift rows
_v_add_u32 v5, v5, v10                             // shift storeRemap coord1
v_fma_mix_f32 v[vgprValuC+13], s[sgprBeta], v12, v[vgprValuC+13], op_sel:[0,0,0] op_sel_hi:[0,1,0] // //C*=beta
v_cvt_f16_f32 v[vgprValuC+13], v[vgprValuC+13]     // convert C to fp16
_ds_store_b16 v7, v13, offset:0                    // storeRemap lw
v_fma_mix_f32 v[vgprValuC+16], s[sgprBeta], v15, v[vgprValuC+16], op_sel:[0,1,0] op_sel_hi:[0,1,0] // //C*=beta
v_cvt_f16_f32 v[vgprValuC+16], v[vgprValuC+16]     // convert C to fp16
_ds_store_b16 v7, v16, offset:2                    // storeRemap lw
	;; [unrolled: 3-line block ×4, first 2 shown]

/* Handle local read and global write */
s_waitcnt lgkmcnt(0)                               // wait for LDS write
s_barrier //wait all lds write finished

_ds_load_b64 v[12:13], v8, offset:0                // storeRemap lr

s_waitcnt lgkmcnt(0)                               // wait for LDS read
_v_add_u32 v11, v5, 0                              // coord1 += nColPerLoad
_v_add_u32 v10, v4, 0                              // coord0 += element index of load vector
_v_add_u32 v9, v6, 0                               // offset coord1 += nColPerLoad
v_cmp_lt_u32 s[54:55], v10, s[sgprSizeI]           // coord0 < size0
v_cmp_lt_u32 s[56:57], v11, s[sgprSizeJ]           // coord1 < size1
s_and_b64 s[56:57], s[54:55], s[56:57]             // in0 && in1
v_mul_lo_u32 v9, v9, s[sgprStrideD1J]              // coord1 element offset =  coord1 * StrideD
_v_add_lshl_u32 v9, v9, v10, 0x1                   // scale to BPE
v_cndmask_b32 v9, -1, v9, s[56:57]                 // clip if OOB. offset
_buffer_store_b16 v12, v9, s[sgprSrdD:sgprSrdD+3], 0, offen, offset:0 // store D
_v_add_u32 v11, v5, 0                              // coord1 += nColPerLoad
_v_add_u32 v10, v4, 1                              // coord0 += element index of load vector
_v_add_u32 v9, v6, 0                               // offset coord1 += nColPerLoad
v_cmp_lt_u32 s[54:55], v10, s[sgprSizeI]           // coord0 < size0
v_cmp_lt_u32 s[56:57], v11, s[sgprSizeJ]           // coord1 < size1
s_and_b64 s[56:57], s[54:55], s[56:57]             // in0 && in1
v_mul_lo_u32 v9, v9, s[sgprStrideD1J]              // coord1 element offset =  coord1 * StrideD
_v_add_lshl_u32 v9, v9, v10, 0x1                   // scale to BPE
v_cndmask_b32 v9, -1, v9, s[56:57]                 // clip if OOB. offset
_buffer_store_d16_hi_b16 v12, v9, s[sgprSrdD:sgprSrdD+3], 0, offen, offset:0 // store D
_v_add_u32 v11, v5, 0                              // coord1 += nColPerLoad
_v_add_u32 v10, v4, 2                              // coord0 += element index of load vector
_v_add_u32 v9, v6, 0                               // offset coord1 += nColPerLoad
v_cmp_lt_u32 s[54:55], v10, s[sgprSizeI]           // coord0 < size0
v_cmp_lt_u32 s[56:57], v11, s[sgprSizeJ]           // coord1 < size1
s_and_b64 s[56:57], s[54:55], s[56:57]             // in0 && in1
v_mul_lo_u32 v9, v9, s[sgprStrideD1J]              // coord1 element offset =  coord1 * StrideD
_v_add_lshl_u32 v9, v9, v10, 0x1                   // scale to BPE
v_cndmask_b32 v9, -1, v9, s[56:57]                 // clip if OOB. offset
_buffer_store_b16 v13, v9, s[sgprSrdD:sgprSrdD+3], 0, offen, offset:0 // store D
_v_add_u32 v11, v5, 0                              // coord1 += nColPerLoad
_v_add_u32 v10, v4, 3                              // coord0 += element index of load vector
_v_add_u32 v9, v6, 0                               // offset coord1 += nColPerLoad
v_cmp_lt_u32 s[54:55], v10, s[sgprSizeI]           // coord0 < size0
v_cmp_lt_u32 s[56:57], v11, s[sgprSizeJ]           // coord1 < size1
s_and_b64 s[56:57], s[54:55], s[56:57]             // in0 && in1
v_mul_lo_u32 v9, v9, s[sgprStrideD1J]              // coord1 element offset =  coord1 * StrideD
_v_add_lshl_u32 v9, v9, v10, 0x1                   // scale to BPE
v_cndmask_b32 v9, -1, v9, s[56:57]                 // clip if OOB. offset
_buffer_store_d16_hi_b16 v13, v9, s[sgprSrdD:sgprSrdD+3], 0, offen, offset:0 // store D

s_barrier //wait all lds read finished
s_nop 0                                            // 1 wait state required when next inst writes vgprs held by previous dwordx4 store inst
/* optSingleColVgpr=0 optSharedColVgpr=0 optSGPRUsage=BufferLoad_Edge_Mask optSrdIncForRow=1 */

/******************************************/
/* Global Write Alpha Beta Edge Batch #5 (d1,d0,vc1,vc0) = */
/*    (5,0,0,0:vw1); (5,0,0,1:vw1); (5,0,0,2:vw1); (5,0,0,3:vw1) */
/******************************************/

/* calc coords, apply mask, and issue loads (if necessary) */
/* (d1,vc1,d0,vc0)=(5,0,0,0) */
_v_add_co_u32 v1, vcc, v1, 16                      // coord1.1: coord1Vgpr += d1*sg1*VW + vc1
v_cmp_lt_u32 s[54:55], v0, s[sgprSizeI]            // coord0 < size0
v_cmp_lt_u32 s[58:59], v1, s[sgprSizeJ]            // coord1 < size1
s_and_b64 s[58:59], s[54:55], s[58:59]             // in0 && in1
_v_add_lshl_u32 v9, v2, v0, 0x1                    // scaleToBpe: accumulate d0 lower and *= bpe into Cin addr
v_cndmask_b32 v9, -1, v9, s[58:59]                 // LDC clip if OOB. offset
s_mul_i32 s54, s[sgprStrideC1J], 32                // scale StrideC *= numRows(16) * bpe
s_add_u32  s[sgprSrdC+0], s[sgprSrdC+0], s54       // incToNextRow: gra SRD += inc(lower)
s_addc_u32  s[sgprSrdC+1], s[sgprSrdC+1], 0        // incToNextRow: gra SRD += inc(upper)
_buffer_load_d16_b16 v12, v9, s[sgprSrdC:sgprSrdC+3], 0, offen offset:0 // load C for beta calc
_v_add_lshl_u32 v9, v3, v0, 0x1                    // scaleToBpe: accumulate d0 lower and *= bpe into Cin addr
v_cndmask_b32 v9, -1, v9, s[58:59]                 // LDD clip if OOB. offset
/* (d1,vc1,d0,vc0)=(5,0,0,1) */
_v_add_co_u32 v10, vcc, v0, 1                      // coord0.1: coord0 += d0*sg0*VW + vc0
v_cmp_lt_u32 s[54:55], v10, s[sgprSizeI]           // coord0 < size0
v_cmp_lt_u32 s[58:59], v1, s[sgprSizeJ]            // coord1 < size1
s_and_b64 s[58:59], s[54:55], s[58:59]             // in0 && in1
_v_add_lshl_u32 v14, v2, v10, 0x1                  // scaleToBpe: accumulate d0 lower and *= bpe into Cin addr
v_cndmask_b32 v14, -1, v14, s[58:59]               // LDC clip if OOB. offset
_buffer_load_d16_hi_b16 v15, v14, s[sgprSrdC:sgprSrdC+3], 0, offen offset:0 // load C for beta calc
_v_add_lshl_u32 v14, v3, v10, 0x1                  // scaleToBpe: accumulate d0 lower and *= bpe into Cin addr
v_cndmask_b32 v14, -1, v14, s[58:59]               // LDD clip if OOB. offset
/* (d1,vc1,d0,vc0)=(5,0,0,2) */
_v_add_co_u32 v10, vcc, v0, 2                      // coord0.1: coord0 += d0*sg0*VW + vc0
v_cmp_lt_u32 s[54:55], v10, s[sgprSizeI]           // coord0 < size0
v_cmp_lt_u32 s[58:59], v1, s[sgprSizeJ]            // coord1 < size1
s_and_b64 s[58:59], s[54:55], s[58:59]             // in0 && in1
_v_add_lshl_u32 v17, v2, v10, 0x1                  // scaleToBpe: accumulate d0 lower and *= bpe into Cin addr
v_cndmask_b32 v17, -1, v17, s[58:59]               // LDC clip if OOB. offset
_buffer_load_d16_b16 v18, v17, s[sgprSrdC:sgprSrdC+3], 0, offen offset:0 // load C for beta calc
_v_add_lshl_u32 v17, v3, v10, 0x1                  // scaleToBpe: accumulate d0 lower and *= bpe into Cin addr
v_cndmask_b32 v17, -1, v17, s[58:59]               // LDD clip if OOB. offset
/* (d1,vc1,d0,vc0)=(5,0,0,3) */
_v_add_co_u32 v10, vcc, v0, 3                      // coord0.1: coord0 += d0*sg0*VW + vc0
v_cmp_lt_u32 s[54:55], v10, s[sgprSizeI]           // coord0 < size0
v_cmp_lt_u32 s[58:59], v1, s[sgprSizeJ]            // coord1 < size1
s_and_b64 s[58:59], s[54:55], s[58:59]             // in0 && in1
_v_add_lshl_u32 v20, v2, v10, 0x1                  // scaleToBpe: accumulate d0 lower and *= bpe into Cin addr
v_cndmask_b32 v20, -1, v20, s[58:59]               // LDC clip if OOB. offset
_buffer_load_d16_hi_b16 v21, v20, s[sgprSrdC:sgprSrdC+3], 0, offen offset:0 // load C for beta calc
_v_add_lshl_u32 v20, v3, v10, 0x1                  // scaleToBpe: accumulate d0 lower and *= bpe into Cin addr
v_cndmask_b32 v20, -1, v20, s[58:59]               // LDD clip if OOB. offset
v_accvgpr_read_b32 v[vgprValuC+13], acc20 // copy acc to vreg[20]
v_accvgpr_read_b32 v[vgprValuC+16], acc21 // copy acc to vreg[21]
v_accvgpr_read_b32 v[vgprValuC+19], acc22 // copy acc to vreg[22]
v_accvgpr_read_b32 v[vgprValuC+22], acc23 // copy acc to vreg[23]
s_nop 1                                            // 2 wait states required before reading vgpr

/* rC *= alpha batchElements=[(5, 0, 0, 0), (5, 0, 0, 1), (5, 0, 0, 2), (5, 0, 0, 3)] */
v_mul_f32 v[vgprValuC+13], s[sgprAlpha], v[vgprValuC+13] // *= alpha
v_mul_f32 v[vgprValuC+16], s[sgprAlpha], v[vgprValuC+16] // *= alpha
	;; [unrolled: 1-line block ×4, first 2 shown]
s_waitcnt vmcnt(0)                                 // wait C

/* apply mask, calc new C and issue writes */

/* StoreRemap: shift coord1 address */
s_mul_i32 s54, s[sgprStrideD1J], 32                // scale StrideD *= numRows(16) * bpe
s_add_u32  s[sgprSrdD+0], s[sgprSrdD+0], s54       // incToNextRow: gra SRD += inc(lower)
s_addc_u32  s[sgprSrdD+1], s[sgprSrdD+1], 0        // incToNextRow: gra SRD += inc(upper)
v_mov_b32 v10, 16                                  // set shift rows
_v_add_u32 v5, v5, v10                             // shift storeRemap coord1
v_fma_mix_f32 v[vgprValuC+13], s[sgprBeta], v12, v[vgprValuC+13], op_sel:[0,0,0] op_sel_hi:[0,1,0] // //C*=beta
v_cvt_f16_f32 v[vgprValuC+13], v[vgprValuC+13]     // convert C to fp16
_ds_store_b16 v7, v13, offset:0                    // storeRemap lw
v_fma_mix_f32 v[vgprValuC+16], s[sgprBeta], v15, v[vgprValuC+16], op_sel:[0,1,0] op_sel_hi:[0,1,0] // //C*=beta
v_cvt_f16_f32 v[vgprValuC+16], v[vgprValuC+16]     // convert C to fp16
_ds_store_b16 v7, v16, offset:2                    // storeRemap lw
	;; [unrolled: 3-line block ×4, first 2 shown]

/* Handle local read and global write */
s_waitcnt lgkmcnt(0)                               // wait for LDS write
s_barrier //wait all lds write finished

_ds_load_b64 v[12:13], v8, offset:0                // storeRemap lr

s_waitcnt lgkmcnt(0)                               // wait for LDS read
_v_add_u32 v11, v5, 0                              // coord1 += nColPerLoad
_v_add_u32 v10, v4, 0                              // coord0 += element index of load vector
_v_add_u32 v9, v6, 0                               // offset coord1 += nColPerLoad
v_cmp_lt_u32 s[54:55], v10, s[sgprSizeI]           // coord0 < size0
v_cmp_lt_u32 s[56:57], v11, s[sgprSizeJ]           // coord1 < size1
s_and_b64 s[56:57], s[54:55], s[56:57]             // in0 && in1
v_mul_lo_u32 v9, v9, s[sgprStrideD1J]              // coord1 element offset =  coord1 * StrideD
_v_add_lshl_u32 v9, v9, v10, 0x1                   // scale to BPE
v_cndmask_b32 v9, -1, v9, s[56:57]                 // clip if OOB. offset
_buffer_store_b16 v12, v9, s[sgprSrdD:sgprSrdD+3], 0, offen, offset:0 // store D
_v_add_u32 v11, v5, 0                              // coord1 += nColPerLoad
_v_add_u32 v10, v4, 1                              // coord0 += element index of load vector
_v_add_u32 v9, v6, 0                               // offset coord1 += nColPerLoad
v_cmp_lt_u32 s[54:55], v10, s[sgprSizeI]           // coord0 < size0
v_cmp_lt_u32 s[56:57], v11, s[sgprSizeJ]           // coord1 < size1
s_and_b64 s[56:57], s[54:55], s[56:57]             // in0 && in1
v_mul_lo_u32 v9, v9, s[sgprStrideD1J]              // coord1 element offset =  coord1 * StrideD
_v_add_lshl_u32 v9, v9, v10, 0x1                   // scale to BPE
v_cndmask_b32 v9, -1, v9, s[56:57]                 // clip if OOB. offset
_buffer_store_d16_hi_b16 v12, v9, s[sgprSrdD:sgprSrdD+3], 0, offen, offset:0 // store D
_v_add_u32 v11, v5, 0                              // coord1 += nColPerLoad
_v_add_u32 v10, v4, 2                              // coord0 += element index of load vector
_v_add_u32 v9, v6, 0                               // offset coord1 += nColPerLoad
v_cmp_lt_u32 s[54:55], v10, s[sgprSizeI]           // coord0 < size0
v_cmp_lt_u32 s[56:57], v11, s[sgprSizeJ]           // coord1 < size1
s_and_b64 s[56:57], s[54:55], s[56:57]             // in0 && in1
v_mul_lo_u32 v9, v9, s[sgprStrideD1J]              // coord1 element offset =  coord1 * StrideD
_v_add_lshl_u32 v9, v9, v10, 0x1                   // scale to BPE
v_cndmask_b32 v9, -1, v9, s[56:57]                 // clip if OOB. offset
_buffer_store_b16 v13, v9, s[sgprSrdD:sgprSrdD+3], 0, offen, offset:0 // store D
_v_add_u32 v11, v5, 0                              // coord1 += nColPerLoad
_v_add_u32 v10, v4, 3                              // coord0 += element index of load vector
_v_add_u32 v9, v6, 0                               // offset coord1 += nColPerLoad
v_cmp_lt_u32 s[54:55], v10, s[sgprSizeI]           // coord0 < size0
v_cmp_lt_u32 s[56:57], v11, s[sgprSizeJ]           // coord1 < size1
s_and_b64 s[56:57], s[54:55], s[56:57]             // in0 && in1
v_mul_lo_u32 v9, v9, s[sgprStrideD1J]              // coord1 element offset =  coord1 * StrideD
_v_add_lshl_u32 v9, v9, v10, 0x1                   // scale to BPE
v_cndmask_b32 v9, -1, v9, s[56:57]                 // clip if OOB. offset
_buffer_store_d16_hi_b16 v13, v9, s[sgprSrdD:sgprSrdD+3], 0, offen, offset:0 // store D

s_barrier //wait all lds read finished
s_nop 0                                            // 1 wait state required when next inst writes vgprs held by previous dwordx4 store inst
/* optSingleColVgpr=0 optSharedColVgpr=0 optSGPRUsage=BufferLoad_Edge_Mask optSrdIncForRow=1 */

/******************************************/
/* Global Write Alpha Beta Edge Batch #6 (d1,d0,vc1,vc0) = */
/*    (6,0,0,0:vw1); (6,0,0,1:vw1); (6,0,0,2:vw1); (6,0,0,3:vw1) */
/******************************************/

/* calc coords, apply mask, and issue loads (if necessary) */
/* (d1,vc1,d0,vc0)=(6,0,0,0) */
_v_add_co_u32 v1, vcc, v1, 16                      // coord1.1: coord1Vgpr += d1*sg1*VW + vc1
v_cmp_lt_u32 s[54:55], v0, s[sgprSizeI]            // coord0 < size0
v_cmp_lt_u32 s[58:59], v1, s[sgprSizeJ]            // coord1 < size1
s_and_b64 s[58:59], s[54:55], s[58:59]             // in0 && in1
_v_add_lshl_u32 v9, v2, v0, 0x1                    // scaleToBpe: accumulate d0 lower and *= bpe into Cin addr
v_cndmask_b32 v9, -1, v9, s[58:59]                 // LDC clip if OOB. offset
s_mul_i32 s54, s[sgprStrideC1J], 32                // scale StrideC *= numRows(16) * bpe
s_add_u32  s[sgprSrdC+0], s[sgprSrdC+0], s54       // incToNextRow: gra SRD += inc(lower)
s_addc_u32  s[sgprSrdC+1], s[sgprSrdC+1], 0        // incToNextRow: gra SRD += inc(upper)
_buffer_load_d16_b16 v12, v9, s[sgprSrdC:sgprSrdC+3], 0, offen offset:0 // load C for beta calc
_v_add_lshl_u32 v9, v3, v0, 0x1                    // scaleToBpe: accumulate d0 lower and *= bpe into Cin addr
v_cndmask_b32 v9, -1, v9, s[58:59]                 // LDD clip if OOB. offset
/* (d1,vc1,d0,vc0)=(6,0,0,1) */
_v_add_co_u32 v10, vcc, v0, 1                      // coord0.1: coord0 += d0*sg0*VW + vc0
v_cmp_lt_u32 s[54:55], v10, s[sgprSizeI]           // coord0 < size0
v_cmp_lt_u32 s[58:59], v1, s[sgprSizeJ]            // coord1 < size1
s_and_b64 s[58:59], s[54:55], s[58:59]             // in0 && in1
_v_add_lshl_u32 v14, v2, v10, 0x1                  // scaleToBpe: accumulate d0 lower and *= bpe into Cin addr
v_cndmask_b32 v14, -1, v14, s[58:59]               // LDC clip if OOB. offset
_buffer_load_d16_hi_b16 v15, v14, s[sgprSrdC:sgprSrdC+3], 0, offen offset:0 // load C for beta calc
_v_add_lshl_u32 v14, v3, v10, 0x1                  // scaleToBpe: accumulate d0 lower and *= bpe into Cin addr
v_cndmask_b32 v14, -1, v14, s[58:59]               // LDD clip if OOB. offset
/* (d1,vc1,d0,vc0)=(6,0,0,2) */
_v_add_co_u32 v10, vcc, v0, 2                      // coord0.1: coord0 += d0*sg0*VW + vc0
v_cmp_lt_u32 s[54:55], v10, s[sgprSizeI]           // coord0 < size0
v_cmp_lt_u32 s[58:59], v1, s[sgprSizeJ]            // coord1 < size1
s_and_b64 s[58:59], s[54:55], s[58:59]             // in0 && in1
_v_add_lshl_u32 v17, v2, v10, 0x1                  // scaleToBpe: accumulate d0 lower and *= bpe into Cin addr
v_cndmask_b32 v17, -1, v17, s[58:59]               // LDC clip if OOB. offset
_buffer_load_d16_b16 v18, v17, s[sgprSrdC:sgprSrdC+3], 0, offen offset:0 // load C for beta calc
_v_add_lshl_u32 v17, v3, v10, 0x1                  // scaleToBpe: accumulate d0 lower and *= bpe into Cin addr
v_cndmask_b32 v17, -1, v17, s[58:59]               // LDD clip if OOB. offset
/* (d1,vc1,d0,vc0)=(6,0,0,3) */
_v_add_co_u32 v10, vcc, v0, 3                      // coord0.1: coord0 += d0*sg0*VW + vc0
v_cmp_lt_u32 s[54:55], v10, s[sgprSizeI]           // coord0 < size0
v_cmp_lt_u32 s[58:59], v1, s[sgprSizeJ]            // coord1 < size1
s_and_b64 s[58:59], s[54:55], s[58:59]             // in0 && in1
_v_add_lshl_u32 v20, v2, v10, 0x1                  // scaleToBpe: accumulate d0 lower and *= bpe into Cin addr
v_cndmask_b32 v20, -1, v20, s[58:59]               // LDC clip if OOB. offset
_buffer_load_d16_hi_b16 v21, v20, s[sgprSrdC:sgprSrdC+3], 0, offen offset:0 // load C for beta calc
_v_add_lshl_u32 v20, v3, v10, 0x1                  // scaleToBpe: accumulate d0 lower and *= bpe into Cin addr
v_cndmask_b32 v20, -1, v20, s[58:59]               // LDD clip if OOB. offset
v_accvgpr_read_b32 v[vgprValuC+13], acc24 // copy acc to vreg[24]
v_accvgpr_read_b32 v[vgprValuC+16], acc25 // copy acc to vreg[25]
v_accvgpr_read_b32 v[vgprValuC+19], acc26 // copy acc to vreg[26]
v_accvgpr_read_b32 v[vgprValuC+22], acc27 // copy acc to vreg[27]
s_nop 1                                            // 2 wait states required before reading vgpr

/* rC *= alpha batchElements=[(6, 0, 0, 0), (6, 0, 0, 1), (6, 0, 0, 2), (6, 0, 0, 3)] */
v_mul_f32 v[vgprValuC+13], s[sgprAlpha], v[vgprValuC+13] // *= alpha
v_mul_f32 v[vgprValuC+16], s[sgprAlpha], v[vgprValuC+16] // *= alpha
	;; [unrolled: 1-line block ×4, first 2 shown]
s_waitcnt vmcnt(0)                                 // wait C

/* apply mask, calc new C and issue writes */

/* StoreRemap: shift coord1 address */
s_mul_i32 s54, s[sgprStrideD1J], 32                // scale StrideD *= numRows(16) * bpe
s_add_u32  s[sgprSrdD+0], s[sgprSrdD+0], s54       // incToNextRow: gra SRD += inc(lower)
s_addc_u32  s[sgprSrdD+1], s[sgprSrdD+1], 0        // incToNextRow: gra SRD += inc(upper)
v_mov_b32 v10, 16                                  // set shift rows
_v_add_u32 v5, v5, v10                             // shift storeRemap coord1
v_fma_mix_f32 v[vgprValuC+13], s[sgprBeta], v12, v[vgprValuC+13], op_sel:[0,0,0] op_sel_hi:[0,1,0] // //C*=beta
v_cvt_f16_f32 v[vgprValuC+13], v[vgprValuC+13]     // convert C to fp16
_ds_store_b16 v7, v13, offset:0                    // storeRemap lw
v_fma_mix_f32 v[vgprValuC+16], s[sgprBeta], v15, v[vgprValuC+16], op_sel:[0,1,0] op_sel_hi:[0,1,0] // //C*=beta
v_cvt_f16_f32 v[vgprValuC+16], v[vgprValuC+16]     // convert C to fp16
_ds_store_b16 v7, v16, offset:2                    // storeRemap lw
	;; [unrolled: 3-line block ×4, first 2 shown]

/* Handle local read and global write */
s_waitcnt lgkmcnt(0)                               // wait for LDS write
s_barrier //wait all lds write finished

_ds_load_b64 v[12:13], v8, offset:0                // storeRemap lr

s_waitcnt lgkmcnt(0)                               // wait for LDS read
_v_add_u32 v11, v5, 0                              // coord1 += nColPerLoad
_v_add_u32 v10, v4, 0                              // coord0 += element index of load vector
_v_add_u32 v9, v6, 0                               // offset coord1 += nColPerLoad
v_cmp_lt_u32 s[54:55], v10, s[sgprSizeI]           // coord0 < size0
v_cmp_lt_u32 s[56:57], v11, s[sgprSizeJ]           // coord1 < size1
s_and_b64 s[56:57], s[54:55], s[56:57]             // in0 && in1
v_mul_lo_u32 v9, v9, s[sgprStrideD1J]              // coord1 element offset =  coord1 * StrideD
_v_add_lshl_u32 v9, v9, v10, 0x1                   // scale to BPE
v_cndmask_b32 v9, -1, v9, s[56:57]                 // clip if OOB. offset
_buffer_store_b16 v12, v9, s[sgprSrdD:sgprSrdD+3], 0, offen, offset:0 // store D
_v_add_u32 v11, v5, 0                              // coord1 += nColPerLoad
_v_add_u32 v10, v4, 1                              // coord0 += element index of load vector
_v_add_u32 v9, v6, 0                               // offset coord1 += nColPerLoad
v_cmp_lt_u32 s[54:55], v10, s[sgprSizeI]           // coord0 < size0
v_cmp_lt_u32 s[56:57], v11, s[sgprSizeJ]           // coord1 < size1
s_and_b64 s[56:57], s[54:55], s[56:57]             // in0 && in1
v_mul_lo_u32 v9, v9, s[sgprStrideD1J]              // coord1 element offset =  coord1 * StrideD
_v_add_lshl_u32 v9, v9, v10, 0x1                   // scale to BPE
v_cndmask_b32 v9, -1, v9, s[56:57]                 // clip if OOB. offset
_buffer_store_d16_hi_b16 v12, v9, s[sgprSrdD:sgprSrdD+3], 0, offen, offset:0 // store D
_v_add_u32 v11, v5, 0                              // coord1 += nColPerLoad
_v_add_u32 v10, v4, 2                              // coord0 += element index of load vector
_v_add_u32 v9, v6, 0                               // offset coord1 += nColPerLoad
v_cmp_lt_u32 s[54:55], v10, s[sgprSizeI]           // coord0 < size0
v_cmp_lt_u32 s[56:57], v11, s[sgprSizeJ]           // coord1 < size1
s_and_b64 s[56:57], s[54:55], s[56:57]             // in0 && in1
v_mul_lo_u32 v9, v9, s[sgprStrideD1J]              // coord1 element offset =  coord1 * StrideD
_v_add_lshl_u32 v9, v9, v10, 0x1                   // scale to BPE
v_cndmask_b32 v9, -1, v9, s[56:57]                 // clip if OOB. offset
_buffer_store_b16 v13, v9, s[sgprSrdD:sgprSrdD+3], 0, offen, offset:0 // store D
_v_add_u32 v11, v5, 0                              // coord1 += nColPerLoad
_v_add_u32 v10, v4, 3                              // coord0 += element index of load vector
_v_add_u32 v9, v6, 0                               // offset coord1 += nColPerLoad
v_cmp_lt_u32 s[54:55], v10, s[sgprSizeI]           // coord0 < size0
v_cmp_lt_u32 s[56:57], v11, s[sgprSizeJ]           // coord1 < size1
s_and_b64 s[56:57], s[54:55], s[56:57]             // in0 && in1
v_mul_lo_u32 v9, v9, s[sgprStrideD1J]              // coord1 element offset =  coord1 * StrideD
_v_add_lshl_u32 v9, v9, v10, 0x1                   // scale to BPE
v_cndmask_b32 v9, -1, v9, s[56:57]                 // clip if OOB. offset
_buffer_store_d16_hi_b16 v13, v9, s[sgprSrdD:sgprSrdD+3], 0, offen, offset:0 // store D

s_barrier //wait all lds read finished
s_nop 0                                            // 1 wait state required when next inst writes vgprs held by previous dwordx4 store inst
/* optSingleColVgpr=0 optSharedColVgpr=0 optSGPRUsage=BufferLoad_Edge_Mask optSrdIncForRow=1 */

/******************************************/
/* Global Write Alpha Beta Edge Batch #7 (d1,d0,vc1,vc0) = */
/*    (7,0,0,0:vw1); (7,0,0,1:vw1); (7,0,0,2:vw1); (7,0,0,3:vw1) */
/******************************************/

/* calc coords, apply mask, and issue loads (if necessary) */
/* (d1,vc1,d0,vc0)=(7,0,0,0) */
_v_add_co_u32 v1, vcc, v1, 16                      // coord1.1: coord1Vgpr += d1*sg1*VW + vc1
v_cmp_lt_u32 s[54:55], v0, s[sgprSizeI]            // coord0 < size0
v_cmp_lt_u32 s[58:59], v1, s[sgprSizeJ]            // coord1 < size1
s_and_b64 s[58:59], s[54:55], s[58:59]             // in0 && in1
_v_add_lshl_u32 v9, v2, v0, 0x1                    // scaleToBpe: accumulate d0 lower and *= bpe into Cin addr
v_cndmask_b32 v9, -1, v9, s[58:59]                 // LDC clip if OOB. offset
s_mul_i32 s54, s[sgprStrideC1J], 32                // scale StrideC *= numRows(16) * bpe
s_add_u32  s[sgprSrdC+0], s[sgprSrdC+0], s54       // incToNextRow: gra SRD += inc(lower)
s_addc_u32  s[sgprSrdC+1], s[sgprSrdC+1], 0        // incToNextRow: gra SRD += inc(upper)
_buffer_load_d16_b16 v12, v9, s[sgprSrdC:sgprSrdC+3], 0, offen offset:0 // load C for beta calc
_v_add_lshl_u32 v9, v3, v0, 0x1                    // scaleToBpe: accumulate d0 lower and *= bpe into Cin addr
v_cndmask_b32 v9, -1, v9, s[58:59]                 // LDD clip if OOB. offset
/* (d1,vc1,d0,vc0)=(7,0,0,1) */
_v_add_co_u32 v10, vcc, v0, 1                      // coord0.1: coord0 += d0*sg0*VW + vc0
v_cmp_lt_u32 s[54:55], v10, s[sgprSizeI]           // coord0 < size0
v_cmp_lt_u32 s[58:59], v1, s[sgprSizeJ]            // coord1 < size1
s_and_b64 s[58:59], s[54:55], s[58:59]             // in0 && in1
_v_add_lshl_u32 v14, v2, v10, 0x1                  // scaleToBpe: accumulate d0 lower and *= bpe into Cin addr
v_cndmask_b32 v14, -1, v14, s[58:59]               // LDC clip if OOB. offset
_buffer_load_d16_hi_b16 v15, v14, s[sgprSrdC:sgprSrdC+3], 0, offen offset:0 // load C for beta calc
_v_add_lshl_u32 v14, v3, v10, 0x1                  // scaleToBpe: accumulate d0 lower and *= bpe into Cin addr
v_cndmask_b32 v14, -1, v14, s[58:59]               // LDD clip if OOB. offset
/* (d1,vc1,d0,vc0)=(7,0,0,2) */
_v_add_co_u32 v10, vcc, v0, 2                      // coord0.1: coord0 += d0*sg0*VW + vc0
v_cmp_lt_u32 s[54:55], v10, s[sgprSizeI]           // coord0 < size0
v_cmp_lt_u32 s[58:59], v1, s[sgprSizeJ]            // coord1 < size1
s_and_b64 s[58:59], s[54:55], s[58:59]             // in0 && in1
_v_add_lshl_u32 v17, v2, v10, 0x1                  // scaleToBpe: accumulate d0 lower and *= bpe into Cin addr
v_cndmask_b32 v17, -1, v17, s[58:59]               // LDC clip if OOB. offset
_buffer_load_d16_b16 v18, v17, s[sgprSrdC:sgprSrdC+3], 0, offen offset:0 // load C for beta calc
_v_add_lshl_u32 v17, v3, v10, 0x1                  // scaleToBpe: accumulate d0 lower and *= bpe into Cin addr
v_cndmask_b32 v17, -1, v17, s[58:59]               // LDD clip if OOB. offset
/* (d1,vc1,d0,vc0)=(7,0,0,3) */
_v_add_co_u32 v10, vcc, v0, 3                      // coord0.1: coord0 += d0*sg0*VW + vc0
v_cmp_lt_u32 s[54:55], v10, s[sgprSizeI]           // coord0 < size0
v_cmp_lt_u32 s[58:59], v1, s[sgprSizeJ]            // coord1 < size1
s_and_b64 s[58:59], s[54:55], s[58:59]             // in0 && in1
_v_add_lshl_u32 v20, v2, v10, 0x1                  // scaleToBpe: accumulate d0 lower and *= bpe into Cin addr
v_cndmask_b32 v20, -1, v20, s[58:59]               // LDC clip if OOB. offset
_buffer_load_d16_hi_b16 v21, v20, s[sgprSrdC:sgprSrdC+3], 0, offen offset:0 // load C for beta calc
_v_add_lshl_u32 v20, v3, v10, 0x1                  // scaleToBpe: accumulate d0 lower and *= bpe into Cin addr
v_cndmask_b32 v20, -1, v20, s[58:59]               // LDD clip if OOB. offset
v_accvgpr_read_b32 v[vgprValuC+13], acc28 // copy acc to vreg[28]
v_accvgpr_read_b32 v[vgprValuC+16], acc29 // copy acc to vreg[29]
v_accvgpr_read_b32 v[vgprValuC+19], acc30 // copy acc to vreg[30]
v_accvgpr_read_b32 v[vgprValuC+22], acc31 // copy acc to vreg[31]
s_nop 1                                            // 2 wait states required before reading vgpr

/* rC *= alpha batchElements=[(7, 0, 0, 0), (7, 0, 0, 1), (7, 0, 0, 2), (7, 0, 0, 3)] */
v_mul_f32 v[vgprValuC+13], s[sgprAlpha], v[vgprValuC+13] // *= alpha
v_mul_f32 v[vgprValuC+16], s[sgprAlpha], v[vgprValuC+16] // *= alpha
	;; [unrolled: 1-line block ×4, first 2 shown]
s_waitcnt vmcnt(0)                                 // wait C

/* apply mask, calc new C and issue writes */

/* StoreRemap: shift coord1 address */
s_mul_i32 s54, s[sgprStrideD1J], 32                // scale StrideD *= numRows(16) * bpe
s_add_u32  s[sgprSrdD+0], s[sgprSrdD+0], s54       // incToNextRow: gra SRD += inc(lower)
s_addc_u32  s[sgprSrdD+1], s[sgprSrdD+1], 0        // incToNextRow: gra SRD += inc(upper)
v_mov_b32 v10, 16                                  // set shift rows
_v_add_u32 v5, v5, v10                             // shift storeRemap coord1
v_fma_mix_f32 v[vgprValuC+13], s[sgprBeta], v12, v[vgprValuC+13], op_sel:[0,0,0] op_sel_hi:[0,1,0] // //C*=beta
v_cvt_f16_f32 v[vgprValuC+13], v[vgprValuC+13]     // convert C to fp16
_ds_store_b16 v7, v13, offset:0                    // storeRemap lw
v_fma_mix_f32 v[vgprValuC+16], s[sgprBeta], v15, v[vgprValuC+16], op_sel:[0,1,0] op_sel_hi:[0,1,0] // //C*=beta
v_cvt_f16_f32 v[vgprValuC+16], v[vgprValuC+16]     // convert C to fp16
_ds_store_b16 v7, v16, offset:2                    // storeRemap lw
	;; [unrolled: 3-line block ×4, first 2 shown]

/* Handle local read and global write */
s_waitcnt lgkmcnt(0)                               // wait for LDS write
s_barrier //wait all lds write finished

_ds_load_b64 v[12:13], v8, offset:0                // storeRemap lr

s_waitcnt lgkmcnt(0)                               // wait for LDS read
_v_add_u32 v11, v5, 0                              // coord1 += nColPerLoad
_v_add_u32 v10, v4, 0                              // coord0 += element index of load vector
_v_add_u32 v9, v6, 0                               // offset coord1 += nColPerLoad
v_cmp_lt_u32 s[54:55], v10, s[sgprSizeI]           // coord0 < size0
v_cmp_lt_u32 s[56:57], v11, s[sgprSizeJ]           // coord1 < size1
s_and_b64 s[56:57], s[54:55], s[56:57]             // in0 && in1
v_mul_lo_u32 v9, v9, s[sgprStrideD1J]              // coord1 element offset =  coord1 * StrideD
_v_add_lshl_u32 v9, v9, v10, 0x1                   // scale to BPE
v_cndmask_b32 v9, -1, v9, s[56:57]                 // clip if OOB. offset
_buffer_store_b16 v12, v9, s[sgprSrdD:sgprSrdD+3], 0, offen, offset:0 // store D
_v_add_u32 v11, v5, 0                              // coord1 += nColPerLoad
_v_add_u32 v10, v4, 1                              // coord0 += element index of load vector
_v_add_u32 v9, v6, 0                               // offset coord1 += nColPerLoad
v_cmp_lt_u32 s[54:55], v10, s[sgprSizeI]           // coord0 < size0
v_cmp_lt_u32 s[56:57], v11, s[sgprSizeJ]           // coord1 < size1
s_and_b64 s[56:57], s[54:55], s[56:57]             // in0 && in1
v_mul_lo_u32 v9, v9, s[sgprStrideD1J]              // coord1 element offset =  coord1 * StrideD
_v_add_lshl_u32 v9, v9, v10, 0x1                   // scale to BPE
v_cndmask_b32 v9, -1, v9, s[56:57]                 // clip if OOB. offset
_buffer_store_d16_hi_b16 v12, v9, s[sgprSrdD:sgprSrdD+3], 0, offen, offset:0 // store D
_v_add_u32 v11, v5, 0                              // coord1 += nColPerLoad
_v_add_u32 v10, v4, 2                              // coord0 += element index of load vector
_v_add_u32 v9, v6, 0                               // offset coord1 += nColPerLoad
v_cmp_lt_u32 s[54:55], v10, s[sgprSizeI]           // coord0 < size0
v_cmp_lt_u32 s[56:57], v11, s[sgprSizeJ]           // coord1 < size1
s_and_b64 s[56:57], s[54:55], s[56:57]             // in0 && in1
v_mul_lo_u32 v9, v9, s[sgprStrideD1J]              // coord1 element offset =  coord1 * StrideD
_v_add_lshl_u32 v9, v9, v10, 0x1                   // scale to BPE
v_cndmask_b32 v9, -1, v9, s[56:57]                 // clip if OOB. offset
_buffer_store_b16 v13, v9, s[sgprSrdD:sgprSrdD+3], 0, offen, offset:0 // store D
_v_add_u32 v11, v5, 0                              // coord1 += nColPerLoad
_v_add_u32 v10, v4, 3                              // coord0 += element index of load vector
_v_add_u32 v9, v6, 0                               // offset coord1 += nColPerLoad
v_cmp_lt_u32 s[54:55], v10, s[sgprSizeI]           // coord0 < size0
v_cmp_lt_u32 s[56:57], v11, s[sgprSizeJ]           // coord1 < size1
s_and_b64 s[56:57], s[54:55], s[56:57]             // in0 && in1
v_mul_lo_u32 v9, v9, s[sgprStrideD1J]              // coord1 element offset =  coord1 * StrideD
_v_add_lshl_u32 v9, v9, v10, 0x1                   // scale to BPE
v_cndmask_b32 v9, -1, v9, s[56:57]                 // clip if OOB. offset
_buffer_store_d16_hi_b16 v13, v9, s[sgprSrdD:sgprSrdD+3], 0, offen, offset:0 // store D

s_barrier //wait all lds read finished
s_nop 0                                            // 1 wait state required when next inst writes vgprs held by previous dwordx4 store inst
/* optSingleColVgpr=0 optSharedColVgpr=0 optSGPRUsage=BufferLoad_Edge_Mask optSrdIncForRow=1 */

/******************************************/
/* Global Write Alpha Beta Edge Batch #8 (d1,d0,vc1,vc0) = */
/*    (8,0,0,0:vw1); (8,0,0,1:vw1); (8,0,0,2:vw1); (8,0,0,3:vw1) */
/******************************************/

/* calc coords, apply mask, and issue loads (if necessary) */
/* (d1,vc1,d0,vc0)=(8,0,0,0) */
_v_add_co_u32 v1, vcc, v1, 16                      // coord1.1: coord1Vgpr += d1*sg1*VW + vc1
v_cmp_lt_u32 s[54:55], v0, s[sgprSizeI]            // coord0 < size0
v_cmp_lt_u32 s[58:59], v1, s[sgprSizeJ]            // coord1 < size1
s_and_b64 s[58:59], s[54:55], s[58:59]             // in0 && in1
_v_add_lshl_u32 v9, v2, v0, 0x1                    // scaleToBpe: accumulate d0 lower and *= bpe into Cin addr
v_cndmask_b32 v9, -1, v9, s[58:59]                 // LDC clip if OOB. offset
s_mul_i32 s54, s[sgprStrideC1J], 32                // scale StrideC *= numRows(16) * bpe
s_add_u32  s[sgprSrdC+0], s[sgprSrdC+0], s54       // incToNextRow: gra SRD += inc(lower)
s_addc_u32  s[sgprSrdC+1], s[sgprSrdC+1], 0        // incToNextRow: gra SRD += inc(upper)
_buffer_load_d16_b16 v12, v9, s[sgprSrdC:sgprSrdC+3], 0, offen offset:0 // load C for beta calc
_v_add_lshl_u32 v9, v3, v0, 0x1                    // scaleToBpe: accumulate d0 lower and *= bpe into Cin addr
v_cndmask_b32 v9, -1, v9, s[58:59]                 // LDD clip if OOB. offset
/* (d1,vc1,d0,vc0)=(8,0,0,1) */
_v_add_co_u32 v10, vcc, v0, 1                      // coord0.1: coord0 += d0*sg0*VW + vc0
v_cmp_lt_u32 s[54:55], v10, s[sgprSizeI]           // coord0 < size0
v_cmp_lt_u32 s[58:59], v1, s[sgprSizeJ]            // coord1 < size1
s_and_b64 s[58:59], s[54:55], s[58:59]             // in0 && in1
_v_add_lshl_u32 v14, v2, v10, 0x1                  // scaleToBpe: accumulate d0 lower and *= bpe into Cin addr
v_cndmask_b32 v14, -1, v14, s[58:59]               // LDC clip if OOB. offset
_buffer_load_d16_hi_b16 v15, v14, s[sgprSrdC:sgprSrdC+3], 0, offen offset:0 // load C for beta calc
_v_add_lshl_u32 v14, v3, v10, 0x1                  // scaleToBpe: accumulate d0 lower and *= bpe into Cin addr
v_cndmask_b32 v14, -1, v14, s[58:59]               // LDD clip if OOB. offset
/* (d1,vc1,d0,vc0)=(8,0,0,2) */
_v_add_co_u32 v10, vcc, v0, 2                      // coord0.1: coord0 += d0*sg0*VW + vc0
v_cmp_lt_u32 s[54:55], v10, s[sgprSizeI]           // coord0 < size0
v_cmp_lt_u32 s[58:59], v1, s[sgprSizeJ]            // coord1 < size1
s_and_b64 s[58:59], s[54:55], s[58:59]             // in0 && in1
_v_add_lshl_u32 v17, v2, v10, 0x1                  // scaleToBpe: accumulate d0 lower and *= bpe into Cin addr
v_cndmask_b32 v17, -1, v17, s[58:59]               // LDC clip if OOB. offset
_buffer_load_d16_b16 v18, v17, s[sgprSrdC:sgprSrdC+3], 0, offen offset:0 // load C for beta calc
_v_add_lshl_u32 v17, v3, v10, 0x1                  // scaleToBpe: accumulate d0 lower and *= bpe into Cin addr
v_cndmask_b32 v17, -1, v17, s[58:59]               // LDD clip if OOB. offset
/* (d1,vc1,d0,vc0)=(8,0,0,3) */
_v_add_co_u32 v10, vcc, v0, 3                      // coord0.1: coord0 += d0*sg0*VW + vc0
v_cmp_lt_u32 s[54:55], v10, s[sgprSizeI]           // coord0 < size0
v_cmp_lt_u32 s[58:59], v1, s[sgprSizeJ]            // coord1 < size1
s_and_b64 s[58:59], s[54:55], s[58:59]             // in0 && in1
_v_add_lshl_u32 v20, v2, v10, 0x1                  // scaleToBpe: accumulate d0 lower and *= bpe into Cin addr
v_cndmask_b32 v20, -1, v20, s[58:59]               // LDC clip if OOB. offset
_buffer_load_d16_hi_b16 v21, v20, s[sgprSrdC:sgprSrdC+3], 0, offen offset:0 // load C for beta calc
_v_add_lshl_u32 v20, v3, v10, 0x1                  // scaleToBpe: accumulate d0 lower and *= bpe into Cin addr
v_cndmask_b32 v20, -1, v20, s[58:59]               // LDD clip if OOB. offset
v_accvgpr_read_b32 v[vgprValuC+13], acc32 // copy acc to vreg[32]
v_accvgpr_read_b32 v[vgprValuC+16], acc33 // copy acc to vreg[33]
v_accvgpr_read_b32 v[vgprValuC+19], acc34 // copy acc to vreg[34]
v_accvgpr_read_b32 v[vgprValuC+22], acc35 // copy acc to vreg[35]
s_nop 1                                            // 2 wait states required before reading vgpr

/* rC *= alpha batchElements=[(8, 0, 0, 0), (8, 0, 0, 1), (8, 0, 0, 2), (8, 0, 0, 3)] */
v_mul_f32 v[vgprValuC+13], s[sgprAlpha], v[vgprValuC+13] // *= alpha
v_mul_f32 v[vgprValuC+16], s[sgprAlpha], v[vgprValuC+16] // *= alpha
	;; [unrolled: 1-line block ×4, first 2 shown]
s_waitcnt vmcnt(0)                                 // wait C

/* apply mask, calc new C and issue writes */

/* StoreRemap: shift coord1 address */
s_mul_i32 s54, s[sgprStrideD1J], 32                // scale StrideD *= numRows(16) * bpe
s_add_u32  s[sgprSrdD+0], s[sgprSrdD+0], s54       // incToNextRow: gra SRD += inc(lower)
s_addc_u32  s[sgprSrdD+1], s[sgprSrdD+1], 0        // incToNextRow: gra SRD += inc(upper)
v_mov_b32 v10, 16                                  // set shift rows
_v_add_u32 v5, v5, v10                             // shift storeRemap coord1
v_fma_mix_f32 v[vgprValuC+13], s[sgprBeta], v12, v[vgprValuC+13], op_sel:[0,0,0] op_sel_hi:[0,1,0] // //C*=beta
v_cvt_f16_f32 v[vgprValuC+13], v[vgprValuC+13]     // convert C to fp16
_ds_store_b16 v7, v13, offset:0                    // storeRemap lw
v_fma_mix_f32 v[vgprValuC+16], s[sgprBeta], v15, v[vgprValuC+16], op_sel:[0,1,0] op_sel_hi:[0,1,0] // //C*=beta
v_cvt_f16_f32 v[vgprValuC+16], v[vgprValuC+16]     // convert C to fp16
_ds_store_b16 v7, v16, offset:2                    // storeRemap lw
v_fma_mix_f32 v[vgprValuC+19], s[sgprBeta], v18, v[vgprValuC+19], op_sel:[0,0,0] op_sel_hi:[0,1,0] // //C*=beta
v_cvt_f16_f32 v[vgprValuC+19], v[vgprValuC+19]     // convert C to fp16
_ds_store_b16 v7, v19, offset:4                    // storeRemap lw
v_fma_mix_f32 v[vgprValuC+22], s[sgprBeta], v21, v[vgprValuC+22], op_sel:[0,1,0] op_sel_hi:[0,1,0] // //C*=beta
v_cvt_f16_f32 v[vgprValuC+22], v[vgprValuC+22]     // convert C to fp16
_ds_store_b16 v7, v22, offset:6                    // storeRemap lw

/* Handle local read and global write */
s_waitcnt lgkmcnt(0)                               // wait for LDS write
s_barrier //wait all lds write finished

_ds_load_b64 v[12:13], v8, offset:0                // storeRemap lr

s_waitcnt lgkmcnt(0)                               // wait for LDS read
_v_add_u32 v11, v5, 0                              // coord1 += nColPerLoad
_v_add_u32 v10, v4, 0                              // coord0 += element index of load vector
_v_add_u32 v9, v6, 0                               // offset coord1 += nColPerLoad
v_cmp_lt_u32 s[54:55], v10, s[sgprSizeI]           // coord0 < size0
v_cmp_lt_u32 s[56:57], v11, s[sgprSizeJ]           // coord1 < size1
s_and_b64 s[56:57], s[54:55], s[56:57]             // in0 && in1
v_mul_lo_u32 v9, v9, s[sgprStrideD1J]              // coord1 element offset =  coord1 * StrideD
_v_add_lshl_u32 v9, v9, v10, 0x1                   // scale to BPE
v_cndmask_b32 v9, -1, v9, s[56:57]                 // clip if OOB. offset
_buffer_store_b16 v12, v9, s[sgprSrdD:sgprSrdD+3], 0, offen, offset:0 // store D
_v_add_u32 v11, v5, 0                              // coord1 += nColPerLoad
_v_add_u32 v10, v4, 1                              // coord0 += element index of load vector
_v_add_u32 v9, v6, 0                               // offset coord1 += nColPerLoad
v_cmp_lt_u32 s[54:55], v10, s[sgprSizeI]           // coord0 < size0
v_cmp_lt_u32 s[56:57], v11, s[sgprSizeJ]           // coord1 < size1
s_and_b64 s[56:57], s[54:55], s[56:57]             // in0 && in1
v_mul_lo_u32 v9, v9, s[sgprStrideD1J]              // coord1 element offset =  coord1 * StrideD
_v_add_lshl_u32 v9, v9, v10, 0x1                   // scale to BPE
v_cndmask_b32 v9, -1, v9, s[56:57]                 // clip if OOB. offset
_buffer_store_d16_hi_b16 v12, v9, s[sgprSrdD:sgprSrdD+3], 0, offen, offset:0 // store D
_v_add_u32 v11, v5, 0                              // coord1 += nColPerLoad
_v_add_u32 v10, v4, 2                              // coord0 += element index of load vector
_v_add_u32 v9, v6, 0                               // offset coord1 += nColPerLoad
v_cmp_lt_u32 s[54:55], v10, s[sgprSizeI]           // coord0 < size0
v_cmp_lt_u32 s[56:57], v11, s[sgprSizeJ]           // coord1 < size1
s_and_b64 s[56:57], s[54:55], s[56:57]             // in0 && in1
v_mul_lo_u32 v9, v9, s[sgprStrideD1J]              // coord1 element offset =  coord1 * StrideD
_v_add_lshl_u32 v9, v9, v10, 0x1                   // scale to BPE
v_cndmask_b32 v9, -1, v9, s[56:57]                 // clip if OOB. offset
_buffer_store_b16 v13, v9, s[sgprSrdD:sgprSrdD+3], 0, offen, offset:0 // store D
_v_add_u32 v11, v5, 0                              // coord1 += nColPerLoad
_v_add_u32 v10, v4, 3                              // coord0 += element index of load vector
_v_add_u32 v9, v6, 0                               // offset coord1 += nColPerLoad
v_cmp_lt_u32 s[54:55], v10, s[sgprSizeI]           // coord0 < size0
v_cmp_lt_u32 s[56:57], v11, s[sgprSizeJ]           // coord1 < size1
s_and_b64 s[56:57], s[54:55], s[56:57]             // in0 && in1
v_mul_lo_u32 v9, v9, s[sgprStrideD1J]              // coord1 element offset =  coord1 * StrideD
_v_add_lshl_u32 v9, v9, v10, 0x1                   // scale to BPE
v_cndmask_b32 v9, -1, v9, s[56:57]                 // clip if OOB. offset
_buffer_store_d16_hi_b16 v13, v9, s[sgprSrdD:sgprSrdD+3], 0, offen, offset:0 // store D

s_barrier //wait all lds read finished
s_nop 0                                            // 1 wait state required when next inst writes vgprs held by previous dwordx4 store inst
s_branch label_GW_End_88                           // jump to end
label_GW_End_88:

label_0093:  /// KernelEnd
s_endpgm                                           // Kernel End

